;; amdgpu-corpus repo=ROCm/rocFFT kind=compiled arch=gfx1030 opt=O3
	.text
	.amdgcn_target "amdgcn-amd-amdhsa--gfx1030"
	.amdhsa_code_object_version 6
	.protected	bluestein_single_fwd_len702_dim1_dp_op_CI_CI ; -- Begin function bluestein_single_fwd_len702_dim1_dp_op_CI_CI
	.globl	bluestein_single_fwd_len702_dim1_dp_op_CI_CI
	.p2align	8
	.type	bluestein_single_fwd_len702_dim1_dp_op_CI_CI,@function
bluestein_single_fwd_len702_dim1_dp_op_CI_CI: ; @bluestein_single_fwd_len702_dim1_dp_op_CI_CI
; %bb.0:
	s_mov_b64 s[46:47], s[2:3]
	s_mov_b64 s[44:45], s[0:1]
	s_load_dwordx4 s[0:3], s[4:5], 0x28
	v_mul_u32_u24_e32 v1, 0x231, v0
	v_mov_b32_e32 v105, 0
	s_add_u32 s44, s44, s7
	s_addc_u32 s45, s45, 0
	v_lshrrev_b32_e32 v1, 16, v1
	v_add_nc_u32_e32 v104, s6, v1
	s_waitcnt lgkmcnt(0)
	v_cmp_gt_u64_e32 vcc_lo, s[0:1], v[104:105]
	s_and_saveexec_b32 s0, vcc_lo
	s_cbranch_execz .LBB0_15
; %bb.1:
	s_clause 0x1
	s_load_dwordx2 s[14:15], s[4:5], 0x0
	s_load_dwordx2 s[12:13], s[4:5], 0x38
	v_mul_lo_u16 v1, 0x75, v1
	v_sub_nc_u16 v0, v0, v1
	v_and_b32_e32 v226, 0xffff, v0
	v_cmp_gt_u16_e32 vcc_lo, 54, v0
	v_lshlrev_b32_e32 v225, 4, v226
	s_and_saveexec_b32 s1, vcc_lo
	s_cbranch_execz .LBB0_3
; %bb.2:
	s_load_dwordx2 s[6:7], s[4:5], 0x18
	s_waitcnt lgkmcnt(0)
	v_add_co_u32 v14, s0, s14, v225
	v_add_co_ci_u32_e64 v15, null, s15, 0, s0
	global_load_dwordx4 v[0:3], v225, s[14:15]
	v_add_co_u32 v16, s0, 0x800, v14
	v_add_co_ci_u32_e64 v17, s0, 0, v15, s0
	v_add_co_u32 v28, s0, 0x1000, v14
	v_add_co_ci_u32_e64 v29, s0, 0, v15, s0
	;; [unrolled: 2-line block ×3, first 2 shown]
	v_add_co_u32 v36, s0, 0x1800, v14
	s_load_dwordx4 s[8:11], s[6:7], 0x0
	v_add_co_ci_u32_e64 v37, s0, 0, v15, s0
	v_add_co_u32 v88, s0, 0x2000, v14
	v_add_co_ci_u32_e64 v89, s0, 0, v15, s0
	s_clause 0x1
	global_load_dwordx4 v[4:7], v225, s[14:15] offset:864
	global_load_dwordx4 v[8:11], v225, s[14:15] offset:1728
	s_waitcnt lgkmcnt(0)
	v_mad_u64_u32 v[20:21], null, s10, v104, 0
	v_mad_u64_u32 v[30:31], null, s8, v226, 0
	s_mul_i32 s6, s9, 0x360
	s_mul_hi_u32 s7, s8, 0x360
	s_add_i32 s7, s7, s6
	v_mov_b32_e32 v12, v21
	v_mad_u64_u32 v[12:13], null, s11, v104, v[12:13]
	v_mov_b32_e32 v13, v31
	v_mad_u64_u32 v[22:23], null, s9, v226, v[13:14]
	v_mov_b32_e32 v21, v12
	s_clause 0x1
	global_load_dwordx4 v[12:15], v[16:17], off offset:544
	global_load_dwordx4 v[16:19], v[16:17], off offset:1408
	v_lshlrev_b64 v[32:33], 4, v[20:21]
	v_mov_b32_e32 v31, v22
	s_clause 0x1
	global_load_dwordx4 v[20:23], v[28:29], off offset:224
	global_load_dwordx4 v[24:27], v[28:29], off offset:1088
	v_lshlrev_b64 v[30:31], 4, v[30:31]
	v_add_co_u32 v32, s0, s2, v32
	v_add_co_ci_u32_e64 v33, s0, s3, v33, s0
	s_mul_i32 s2, s8, 0x360
	v_add_co_u32 v40, s0, v32, v30
	v_add_co_ci_u32_e64 v41, s0, v33, v31, s0
	global_load_dwordx4 v[28:31], v[28:29], off offset:1952
	v_add_co_u32 v44, s0, v40, s2
	v_add_co_ci_u32_e64 v45, s0, s7, v41, s0
	s_clause 0x1
	global_load_dwordx4 v[32:35], v[36:37], off offset:768
	global_load_dwordx4 v[36:39], v[36:37], off offset:1632
	v_add_co_u32 v48, s0, v44, s2
	v_add_co_ci_u32_e64 v49, s0, s7, v45, s0
	s_clause 0x1
	global_load_dwordx4 v[40:43], v[40:41], off
	global_load_dwordx4 v[44:47], v[44:45], off
	v_add_co_u32 v52, s0, v48, s2
	v_add_co_ci_u32_e64 v53, s0, s7, v49, s0
	v_add_co_u32 v56, s0, v52, s2
	v_add_co_ci_u32_e64 v57, s0, s7, v53, s0
	s_clause 0x1
	global_load_dwordx4 v[48:51], v[48:49], off
	global_load_dwordx4 v[52:55], v[52:53], off
	v_add_co_u32 v60, s0, v56, s2
	v_add_co_ci_u32_e64 v61, s0, s7, v57, s0
	global_load_dwordx4 v[56:59], v[56:57], off
	v_add_co_u32 v64, s0, v60, s2
	v_add_co_ci_u32_e64 v65, s0, s7, v61, s0
	;; [unrolled: 3-line block ×8, first 2 shown]
	s_clause 0x1
	global_load_dwordx4 v[84:87], v[88:89], off offset:448
	global_load_dwordx4 v[88:91], v[88:89], off offset:1312
	global_load_dwordx4 v[92:95], v[92:93], off
	global_load_dwordx4 v[96:99], v[96:97], off offset:128
	global_load_dwordx4 v[100:103], v[100:101], off
	s_waitcnt vmcnt(15)
	v_mul_f64 v[105:106], v[42:43], v[2:3]
	v_mul_f64 v[2:3], v[40:41], v[2:3]
	s_waitcnt vmcnt(14)
	v_mul_f64 v[107:108], v[46:47], v[6:7]
	v_mul_f64 v[6:7], v[44:45], v[6:7]
	;; [unrolled: 3-line block ×5, first 2 shown]
	v_fma_f64 v[40:41], v[40:41], v[0:1], v[105:106]
	s_waitcnt vmcnt(10)
	v_mul_f64 v[105:106], v[62:63], v[22:23]
	v_mul_f64 v[22:23], v[60:61], v[22:23]
	v_fma_f64 v[42:43], v[42:43], v[0:1], -v[2:3]
	v_fma_f64 v[0:1], v[44:45], v[4:5], v[107:108]
	s_waitcnt vmcnt(9)
	v_mul_f64 v[44:45], v[66:67], v[26:27]
	v_mul_f64 v[26:27], v[64:65], v[26:27]
	v_fma_f64 v[2:3], v[46:47], v[4:5], -v[6:7]
	s_waitcnt vmcnt(8)
	v_mul_f64 v[46:47], v[70:71], v[30:31]
	v_mul_f64 v[30:31], v[68:69], v[30:31]
	v_fma_f64 v[4:5], v[48:49], v[8:9], v[109:110]
	v_fma_f64 v[6:7], v[50:51], v[8:9], -v[10:11]
	v_fma_f64 v[8:9], v[52:53], v[12:13], v[111:112]
	s_waitcnt vmcnt(7)
	v_mul_f64 v[107:108], v[74:75], v[34:35]
	v_mul_f64 v[34:35], v[72:73], v[34:35]
	v_fma_f64 v[10:11], v[54:55], v[12:13], -v[14:15]
	v_fma_f64 v[12:13], v[56:57], v[16:17], v[113:114]
	v_fma_f64 v[14:15], v[58:59], v[16:17], -v[18:19]
	s_waitcnt vmcnt(6)
	v_mul_f64 v[115:116], v[78:79], v[38:39]
	v_mul_f64 v[38:39], v[76:77], v[38:39]
	v_fma_f64 v[16:17], v[60:61], v[20:21], v[105:106]
	v_fma_f64 v[18:19], v[62:63], v[20:21], -v[22:23]
	s_waitcnt vmcnt(4)
	v_mul_f64 v[117:118], v[82:83], v[86:87]
	v_mul_f64 v[86:87], v[80:81], v[86:87]
	s_waitcnt vmcnt(2)
	v_mul_f64 v[119:120], v[94:95], v[90:91]
	v_mul_f64 v[90:91], v[92:93], v[90:91]
	;; [unrolled: 3-line block ×3, first 2 shown]
	v_fma_f64 v[20:21], v[64:65], v[24:25], v[44:45]
	v_fma_f64 v[22:23], v[66:67], v[24:25], -v[26:27]
	v_fma_f64 v[24:25], v[68:69], v[28:29], v[46:47]
	v_fma_f64 v[26:27], v[70:71], v[28:29], -v[30:31]
	;; [unrolled: 2-line block ×7, first 2 shown]
	ds_write_b128 v225, v[40:43]
	ds_write_b128 v225, v[0:3] offset:864
	ds_write_b128 v225, v[4:7] offset:1728
	;; [unrolled: 1-line block ×12, first 2 shown]
.LBB0_3:
	s_or_b32 exec_lo, exec_lo, s1
	s_clause 0x1
	s_load_dwordx2 s[0:1], s[4:5], 0x20
	s_load_dwordx2 s[2:3], s[4:5], 0x8
	s_waitcnt lgkmcnt(0)
	s_barrier
	buffer_gl0_inv
                                        ; implicit-def: $vgpr28_vgpr29
                                        ; implicit-def: $vgpr52_vgpr53
                                        ; implicit-def: $vgpr60_vgpr61
                                        ; implicit-def: $vgpr72_vgpr73
                                        ; implicit-def: $vgpr76_vgpr77
                                        ; implicit-def: $vgpr68_vgpr69
                                        ; implicit-def: $vgpr64_vgpr65
                                        ; implicit-def: $vgpr56_vgpr57
                                        ; implicit-def: $vgpr48_vgpr49
                                        ; implicit-def: $vgpr44_vgpr45
                                        ; implicit-def: $vgpr40_vgpr41
                                        ; implicit-def: $vgpr32_vgpr33
                                        ; implicit-def: $vgpr36_vgpr37
	s_and_saveexec_b32 s4, vcc_lo
	s_cbranch_execz .LBB0_5
; %bb.4:
	ds_read_b128 v[28:31], v225
	ds_read_b128 v[52:55], v225 offset:864
	ds_read_b128 v[60:63], v225 offset:1728
	;; [unrolled: 1-line block ×12, first 2 shown]
.LBB0_5:
	s_or_b32 exec_lo, exec_lo, s4
	s_waitcnt lgkmcnt(0)
	v_add_f64 v[0:1], v[54:55], -v[38:39]
	v_add_f64 v[6:7], v[52:53], -v[36:37]
	;; [unrolled: 1-line block ×4, first 2 shown]
	s_mov_b32 s22, 0x42a4c3d2
	s_mov_b32 s21, 0xbfddbe06
	;; [unrolled: 1-line block ×4, first 2 shown]
	v_add_f64 v[92:93], v[60:61], v[32:33]
	v_add_f64 v[94:95], v[62:63], v[34:35]
	v_add_f64 v[24:25], v[66:67], -v[58:59]
	v_add_f64 v[26:27], v[64:65], -v[56:57]
	s_mov_b32 s4, 0x1ea71119
	s_mov_b32 s34, 0x4bc48dbf
	;; [unrolled: 1-line block ×4, first 2 shown]
	v_add_f64 v[80:81], v[52:53], v[36:37]
	v_add_f64 v[82:83], v[54:55], v[38:39]
	s_mov_b32 s6, 0xe00740e9
	s_mov_b32 s7, 0x3fec55a7
	v_add_f64 v[8:9], v[74:75], -v[42:43]
	v_add_f64 v[10:11], v[72:73], -v[40:41]
	v_mul_f64 v[20:21], v[0:1], s[20:21]
	v_mul_f64 v[22:23], v[6:7], s[20:21]
	;; [unrolled: 1-line block ×5, first 2 shown]
	s_mov_b32 s24, 0x2ef20147
	s_mov_b32 s30, 0x66966769
	;; [unrolled: 1-line block ×4, first 2 shown]
	v_add_f64 v[96:97], v[72:73], v[40:41]
	v_add_f64 v[98:99], v[74:75], v[42:43]
	v_add_f64 v[12:13], v[78:79], -v[46:47]
	v_add_f64 v[14:15], v[76:77], -v[44:45]
	v_mul_f64 v[147:148], v[6:7], s[22:23]
	v_mul_f64 v[127:128], v[2:3], s[24:25]
	s_mov_b32 s10, 0xebaa3ed8
	s_mov_b32 s8, 0xb2365da1
	;; [unrolled: 1-line block ×4, first 2 shown]
	v_mul_f64 v[153:154], v[0:1], s[30:31]
	v_mul_f64 v[113:114], v[8:9], s[30:31]
	v_mul_f64 v[117:118], v[10:11], s[30:31]
	buffer_store_dword v20, off, s[44:47], 0 offset:16 ; 4-byte Folded Spill
	buffer_store_dword v21, off, s[44:47], 0 offset:20 ; 4-byte Folded Spill
	;; [unrolled: 1-line block ×4, first 2 shown]
	buffer_store_dword v84, off, s[44:47], 0 ; 4-byte Folded Spill
	buffer_store_dword v85, off, s[44:47], 0 offset:4 ; 4-byte Folded Spill
	buffer_store_dword v86, off, s[44:47], 0 offset:8 ; 4-byte Folded Spill
	;; [unrolled: 1-line block ×3, first 2 shown]
	v_fma_f64 v[109:110], v[80:81], s[4:5], v[119:120]
	v_add_f64 v[100:101], v[76:77], v[44:45]
	v_add_f64 v[102:103], v[78:79], v[46:47]
	v_add_f64 v[16:17], v[70:71], -v[50:51]
	v_add_f64 v[18:19], v[68:69], -v[48:49]
	v_mul_f64 v[145:146], v[4:5], s[24:25]
	v_mul_f64 v[141:142], v[8:9], s[34:35]
	;; [unrolled: 1-line block ×5, first 2 shown]
	v_fma_f64 v[159:160], v[82:83], s[4:5], -v[147:148]
	v_fma_f64 v[163:164], v[92:93], s[8:9], v[127:128]
	s_mov_b32 s26, 0x24c2f84
	s_mov_b32 s16, 0x93053d00
	;; [unrolled: 1-line block ×4, first 2 shown]
	v_fma_f64 v[165:166], v[96:97], s[10:11], v[113:114]
	v_fma_f64 v[167:168], v[98:99], s[10:11], -v[117:118]
	s_mov_b32 s37, 0x3fe5384d
	s_mov_b32 s36, s26
	v_mul_f64 v[151:152], v[2:3], s[34:35]
	v_fma_f64 v[169:170], v[80:81], s[10:11], v[153:154]
	v_add_f64 v[173:174], v[28:29], v[109:110]
	v_add_f64 v[105:106], v[68:69], v[48:49]
	;; [unrolled: 1-line block ×3, first 2 shown]
	v_mul_f64 v[143:144], v[10:11], s[34:35]
	v_mul_f64 v[137:138], v[12:13], s[36:37]
	;; [unrolled: 1-line block ×6, first 2 shown]
	v_fma_f64 v[181:182], v[94:95], s[8:9], -v[145:146]
	v_fma_f64 v[187:188], v[96:97], s[16:17], v[141:142]
	v_fma_f64 v[189:190], v[100:101], s[8:9], v[133:134]
	v_fma_f64 v[191:192], v[102:103], s[8:9], -v[135:136]
	v_fma_f64 v[195:196], v[82:83], s[10:11], -v[161:162]
	v_add_f64 v[197:198], v[30:31], v[159:160]
	s_mov_b32 s39, 0x3fedeba7
	s_mov_b32 s38, s24
	s_mov_b32 s18, 0xd0032e0c
	s_mov_b32 s19, 0xbfe7f3cc
	s_mov_b32 s29, 0x3fefc445
	s_mov_b32 s28, s30
	v_mul_f64 v[149:150], v[8:9], s[38:39]
	v_add_f64 v[173:174], v[163:164], v[173:174]
	v_fma_f64 v[193:194], v[92:93], s[16:17], v[151:152]
	v_add_f64 v[169:170], v[28:29], v[169:170]
	v_add_f64 v[121:122], v[64:65], v[56:57]
	;; [unrolled: 1-line block ×3, first 2 shown]
	v_mul_f64 v[139:140], v[14:15], s[36:37]
	v_mul_f64 v[129:130], v[16:17], s[28:29]
	;; [unrolled: 1-line block ×5, first 2 shown]
	v_fma_f64 v[199:200], v[98:99], s[16:17], -v[143:144]
	v_fma_f64 v[201:202], v[100:101], s[18:19], v[137:138]
	v_fma_f64 v[203:204], v[105:106], s[18:19], v[115:116]
	v_fma_f64 v[207:208], v[94:95], s[16:17], -v[157:158]
	v_fma_f64 v[211:212], v[80:81], s[8:9], v[171:172]
	v_fma_f64 v[213:214], v[82:83], s[8:9], -v[175:176]
	v_add_f64 v[195:196], v[30:31], v[195:196]
	v_add_f64 v[197:198], v[181:182], v[197:198]
	v_mul_f64 v[0:1], v[0:1], s[34:35]
	v_mul_f64 v[6:7], v[6:7], s[34:35]
	s_mov_b32 s21, 0x3fddbe06
	v_fma_f64 v[209:210], v[96:97], s[8:9], v[149:150]
	v_add_f64 v[173:174], v[187:188], v[173:174]
	v_mul_f64 v[155:156], v[10:11], s[38:39]
	v_add_f64 v[193:194], v[193:194], v[169:170]
	v_mul_f64 v[177:178], v[2:3], s[28:29]
	v_mul_f64 v[179:180], v[4:5], s[28:29]
	v_mul_f64 v[181:182], v[14:15], s[20:21]
	v_fma_f64 v[215:216], v[105:106], s[10:11], v[129:130]
	v_fma_f64 v[223:224], v[92:93], s[18:19], v[163:164]
	;; [unrolled: 1-line block ×3, first 2 shown]
	v_fma_f64 v[231:232], v[82:83], s[18:19], -v[185:186]
	v_mul_f64 v[187:188], v[8:9], s[20:21]
	v_mul_f64 v[131:132], v[18:19], s[28:29]
	;; [unrolled: 1-line block ×4, first 2 shown]
	v_add_f64 v[211:212], v[28:29], v[211:212]
	v_add_f64 v[213:214], v[30:31], v[213:214]
	;; [unrolled: 1-line block ×4, first 2 shown]
	v_fma_f64 v[237:238], v[80:81], s[16:17], v[0:1]
	v_fma_f64 v[207:208], v[82:83], s[16:17], v[6:7]
	v_fma_f64 v[6:7], v[82:83], s[16:17], -v[6:7]
	v_add_f64 v[199:200], v[201:202], v[173:174]
	v_fma_f64 v[201:202], v[80:81], s[16:17], -v[0:1]
	v_add_f64 v[193:194], v[209:210], v[193:194]
	v_fma_f64 v[221:222], v[98:99], s[8:9], -v[155:156]
	v_fma_f64 v[209:210], v[92:93], s[10:11], v[177:178]
	v_fma_f64 v[239:240], v[102:103], s[6:7], -v[181:182]
	v_mul_f64 v[173:174], v[26:27], s[20:21]
	v_add_f64 v[229:230], v[28:29], v[229:230]
	v_add_f64 v[231:232], v[30:31], v[231:232]
	v_fma_f64 v[235:236], v[107:108], s[10:11], -v[131:132]
	v_add_f64 v[211:212], v[223:224], v[211:212]
	v_mul_f64 v[223:224], v[10:11], s[22:23]
	v_add_f64 v[6:7], v[30:31], v[6:7]
	v_add_f64 v[241:242], v[215:216], v[199:200]
	;; [unrolled: 1-line block ×3, first 2 shown]
	v_fma_f64 v[215:216], v[96:97], s[6:7], v[187:188]
	v_add_f64 v[195:196], v[221:222], v[195:196]
	v_add_f64 v[221:222], v[209:210], v[229:230]
	v_add_f64 v[211:212], v[215:216], v[211:212]
	v_fma_f64 v[20:21], v[80:81], s[6:7], v[20:21]
	v_fma_f64 v[22:23], v[82:83], s[6:7], -v[22:23]
	v_fma_f64 v[111:112], v[92:93], s[4:5], v[84:85]
	v_fma_f64 v[125:126], v[94:95], s[4:5], -v[86:87]
	v_mul_f64 v[84:85], v[24:25], s[34:35]
	v_mul_f64 v[86:87], v[26:27], s[34:35]
	s_mov_b32 s35, 0x3fcea1e5
	buffer_store_dword v84, off, s[44:47], 0 offset:32 ; 4-byte Folded Spill
	buffer_store_dword v85, off, s[44:47], 0 offset:36 ; 4-byte Folded Spill
	;; [unrolled: 1-line block ×4, first 2 shown]
	v_add_f64 v[20:21], v[28:29], v[20:21]
	v_add_f64 v[22:23], v[30:31], v[22:23]
	v_mul_f64 v[207:208], v[12:13], s[34:35]
	v_mul_f64 v[209:210], v[14:15], s[34:35]
	s_waitcnt_vscnt null, 0x0
	s_barrier
	buffer_gl0_inv
	v_add_f64 v[20:21], v[111:112], v[20:21]
	v_add_f64 v[22:23], v[125:126], v[22:23]
	v_mul_f64 v[125:126], v[18:19], s[26:27]
	v_add_f64 v[20:21], v[165:166], v[20:21]
	v_add_f64 v[22:23], v[167:168], v[22:23]
	v_mul_f64 v[167:168], v[4:5], s[36:37]
	v_fma_f64 v[205:206], v[107:108], s[18:19], -v[125:126]
	v_mul_f64 v[165:166], v[12:13], s[20:21]
	v_mul_f64 v[4:5], v[4:5], s[20:21]
	v_add_f64 v[20:21], v[189:190], v[20:21]
	v_add_f64 v[22:23], v[191:192], v[22:23]
	v_fma_f64 v[191:192], v[102:103], s[18:19], -v[139:140]
	v_fma_f64 v[227:228], v[94:95], s[18:19], -v[167:168]
	v_fma_f64 v[233:234], v[100:101], s[6:7], v[165:166]
	v_mul_f64 v[189:190], v[10:11], s[20:21]
	v_mul_f64 v[10:11], v[10:11], s[26:27]
	v_add_f64 v[20:21], v[203:204], v[20:21]
	v_add_f64 v[22:23], v[205:206], v[22:23]
	v_mul_f64 v[205:206], v[2:3], s[20:21]
	v_add_f64 v[213:214], v[227:228], v[213:214]
	v_add_f64 v[227:228], v[191:192], v[197:198]
	v_mul_f64 v[203:204], v[8:9], s[22:23]
	v_mul_f64 v[8:9], v[8:9], s[26:27]
	v_add_f64 v[233:234], v[233:234], v[193:194]
	v_mul_f64 v[191:192], v[12:13], s[30:31]
	v_mul_f64 v[193:194], v[14:15], s[30:31]
	s_mov_b32 s31, 0x3fea55e2
	s_mov_b32 s30, s22
	v_mul_f64 v[12:13], v[12:13], s[30:31]
	v_mul_f64 v[14:15], v[14:15], s[30:31]
	v_fma_f64 v[197:198], v[92:93], s[6:7], -v[205:206]
	v_fma_f64 v[205:206], v[92:93], s[6:7], v[205:206]
	v_add_f64 v[227:228], v[235:236], v[227:228]
	v_fma_f64 v[229:230], v[96:97], s[4:5], v[203:204]
	v_fma_f64 v[235:236], v[121:122], s[6:7], v[169:170]
	v_fma_f64 v[245:246], v[100:101], s[4:5], -v[12:13]
	v_fma_f64 v[247:248], v[102:103], s[4:5], v[14:15]
	v_fma_f64 v[12:13], v[100:101], s[4:5], v[12:13]
	v_add_f64 v[221:222], v[229:230], v[221:222]
	v_fma_f64 v[229:230], v[100:101], s[16:17], v[207:208]
	v_add_f64 v[229:230], v[229:230], v[221:222]
	v_mul_f64 v[221:222], v[26:27], s[24:25]
	v_fma_f64 v[217:218], v[121:122], s[16:17], v[84:85]
	v_fma_f64 v[219:220], v[123:124], s[16:17], -v[86:87]
	v_add_f64 v[0:1], v[217:218], v[20:21]
	v_add_f64 v[2:3], v[219:220], v[22:23]
	v_fma_f64 v[20:21], v[94:95], s[10:11], -v[179:180]
	v_add_f64 v[22:23], v[28:29], v[201:202]
	v_fma_f64 v[201:202], v[94:95], s[6:7], v[4:5]
	v_add_f64 v[217:218], v[28:29], v[237:238]
	v_fma_f64 v[4:5], v[94:95], s[6:7], -v[4:5]
	v_fma_f64 v[219:220], v[98:99], s[6:7], -v[189:190]
	v_fma_f64 v[237:238], v[98:99], s[18:19], v[10:11]
	v_add_f64 v[20:21], v[20:21], v[231:232]
	v_fma_f64 v[231:232], v[98:99], s[4:5], -v[223:224]
	v_add_f64 v[22:23], v[197:198], v[22:23]
	v_add_f64 v[197:198], v[201:202], v[199:200]
	v_fma_f64 v[201:202], v[96:97], s[18:19], -v[8:9]
	v_add_f64 v[243:244], v[205:206], v[217:218]
	v_fma_f64 v[8:9], v[96:97], s[18:19], v[8:9]
	v_add_f64 v[4:5], v[4:5], v[6:7]
	v_fma_f64 v[6:7], v[98:99], s[18:19], -v[10:11]
	v_add_f64 v[10:11], v[239:240], v[195:196]
	v_mul_f64 v[195:196], v[18:19], s[22:23]
	v_add_f64 v[215:216], v[219:220], v[213:214]
	v_fma_f64 v[219:220], v[100:101], s[10:11], v[191:192]
	v_fma_f64 v[239:240], v[102:103], s[10:11], -v[193:194]
	v_mul_f64 v[199:200], v[16:17], s[34:35]
	v_mul_f64 v[205:206], v[18:19], s[34:35]
	;; [unrolled: 1-line block ×5, first 2 shown]
	v_add_f64 v[20:21], v[231:232], v[20:21]
	v_fma_f64 v[231:232], v[102:103], s[16:17], -v[209:210]
	v_add_f64 v[237:238], v[237:238], v[197:198]
	v_add_f64 v[22:23], v[201:202], v[22:23]
	v_mul_f64 v[197:198], v[24:25], s[26:27]
	v_add_f64 v[8:9], v[8:9], v[243:244]
	v_mul_f64 v[201:202], v[26:27], s[26:27]
	v_add_f64 v[4:5], v[6:7], v[4:5]
	v_fma_f64 v[6:7], v[102:103], s[4:5], -v[14:15]
	v_mul_f64 v[14:15], v[18:19], s[24:25]
	v_fma_f64 v[18:19], v[105:106], s[4:5], v[159:160]
	v_fma_f64 v[243:244], v[107:108], s[4:5], -v[195:196]
	v_add_f64 v[249:250], v[219:220], v[211:212]
	v_add_f64 v[239:240], v[239:240], v[215:216]
	v_fma_f64 v[251:252], v[105:106], s[16:17], v[199:200]
	v_fma_f64 v[253:254], v[107:108], s[16:17], -v[205:206]
	v_mul_f64 v[211:212], v[24:25], s[30:31]
	v_mul_f64 v[215:216], v[26:27], s[30:31]
	v_fma_f64 v[84:85], v[107:108], s[6:7], -v[217:218]
	v_mul_f64 v[219:220], v[24:25], s[24:25]
	v_mul_f64 v[24:25], v[24:25], s[28:29]
	;; [unrolled: 1-line block ×3, first 2 shown]
	v_add_f64 v[20:21], v[231:232], v[20:21]
	v_fma_f64 v[231:232], v[105:106], s[6:7], v[213:214]
	v_add_f64 v[22:23], v[245:246], v[22:23]
	v_add_f64 v[237:238], v[247:248], v[237:238]
	;; [unrolled: 1-line block ×3, first 2 shown]
	v_fma_f64 v[12:13], v[105:106], s[8:9], -v[16:17]
	v_fma_f64 v[16:17], v[105:106], s[8:9], v[16:17]
	v_add_f64 v[4:5], v[6:7], v[4:5]
	v_fma_f64 v[6:7], v[107:108], s[8:9], v[14:15]
	v_fma_f64 v[14:15], v[107:108], s[8:9], -v[14:15]
	v_add_f64 v[18:19], v[18:19], v[233:234]
	v_fma_f64 v[233:234], v[123:124], s[6:7], -v[173:174]
	v_add_f64 v[10:11], v[243:244], v[10:11]
	v_fma_f64 v[243:244], v[121:122], s[18:19], v[197:198]
	v_add_f64 v[245:246], v[251:252], v[249:250]
	v_fma_f64 v[247:248], v[123:124], s[18:19], -v[201:202]
	v_add_f64 v[239:240], v[253:254], v[239:240]
	v_fma_f64 v[249:250], v[121:122], s[4:5], v[211:212]
	v_fma_f64 v[251:252], v[123:124], s[8:9], -v[221:222]
	v_fma_f64 v[253:254], v[121:122], s[10:11], -v[24:25]
	v_fma_f64 v[88:89], v[123:124], s[10:11], v[26:27]
	v_fma_f64 v[109:110], v[121:122], s[10:11], v[24:25]
	v_add_f64 v[20:21], v[84:85], v[20:21]
	v_add_f64 v[229:230], v[231:232], v[229:230]
	v_fma_f64 v[231:232], v[123:124], s[4:5], -v[215:216]
	v_fma_f64 v[84:85], v[121:122], s[8:9], v[219:220]
	v_fma_f64 v[111:112], v[123:124], s[10:11], -v[26:27]
	v_add_f64 v[22:23], v[12:13], v[22:23]
	v_add_f64 v[86:87], v[16:17], v[8:9]
	;; [unrolled: 1-line block ×6, first 2 shown]
	v_mul_lo_u16 v227, v226, 13
	v_add_f64 v[8:9], v[243:244], v[18:19]
	v_add_f64 v[10:11], v[247:248], v[10:11]
	;; [unrolled: 1-line block ×10, first 2 shown]
	s_and_saveexec_b32 s20, vcc_lo
	s_cbranch_execz .LBB0_7
; %bb.6:
	v_add_f64 v[52:53], v[28:29], v[52:53]
	v_add_f64 v[54:55], v[30:31], v[54:55]
	v_mul_f64 v[84:85], v[82:83], s[10:11]
	v_mul_f64 v[86:87], v[80:81], s[18:19]
	;; [unrolled: 1-line block ×17, first 2 shown]
	v_add_f64 v[52:53], v[52:53], v[60:61]
	v_add_f64 v[54:55], v[54:55], v[62:63]
	v_mul_f64 v[62:63], v[82:83], s[6:7]
	v_mul_f64 v[60:61], v[80:81], s[6:7]
	v_add_f64 v[84:85], v[161:162], v[84:85]
	v_add_f64 v[86:87], v[86:87], -v[183:184]
	v_add_f64 v[111:112], v[145:146], v[111:112]
	v_add_f64 v[157:158], v[157:158], v[230:231]
	;; [unrolled: 1-line block ×4, first 2 shown]
	v_add_f64 v[109:110], v[109:110], -v[127:128]
	v_mul_f64 v[183:184], v[96:97], s[6:7]
	v_add_f64 v[151:152], v[228:229], -v[151:152]
	v_add_f64 v[92:93], v[92:93], -v[177:178]
	;; [unrolled: 1-line block ×4, first 2 shown]
	v_mul_f64 v[161:162], v[100:101], s[10:11]
	v_add_f64 v[117:118], v[117:118], v[238:239]
	v_add_f64 v[113:114], v[236:237], -v[113:114]
	v_mul_f64 v[179:180], v[105:106], s[16:17]
	v_mul_f64 v[177:178], v[107:108], s[16:17]
	;; [unrolled: 1-line block ×3, first 2 shown]
	v_add_f64 v[52:53], v[52:53], v[72:73]
	v_mul_f64 v[72:73], v[80:81], s[4:5]
	v_add_f64 v[54:55], v[54:55], v[74:75]
	v_mul_f64 v[74:75], v[82:83], s[4:5]
	v_add_f64 v[84:85], v[30:31], v[84:85]
	v_add_f64 v[86:87], v[28:29], v[86:87]
	v_mul_f64 v[230:231], v[123:124], s[16:17]
	v_mul_f64 v[228:229], v[121:122], s[6:7]
	;; [unrolled: 1-line block ×5, first 2 shown]
	v_add_f64 v[183:184], v[183:184], -v[187:188]
	v_add_f64 v[52:53], v[52:53], v[76:77]
	v_add_f64 v[72:73], v[72:73], -v[119:120]
	s_clause 0x1
	buffer_load_dword v119, off, s[44:47], 0 offset:24
	buffer_load_dword v120, off, s[44:47], 0 offset:28
	v_add_f64 v[54:55], v[54:55], v[78:79]
	v_mul_f64 v[78:79], v[82:83], s[18:19]
	v_mul_f64 v[82:83], v[82:83], s[8:9]
	v_mul_f64 v[76:77], v[80:81], s[10:11]
	v_mul_f64 v[80:81], v[80:81], s[8:9]
	v_add_f64 v[74:75], v[147:148], v[74:75]
	v_mul_f64 v[147:148], v[100:101], s[18:19]
	v_add_f64 v[84:85], v[157:158], v[84:85]
	v_add_f64 v[86:87], v[92:93], v[86:87]
	;; [unrolled: 1-line block ×3, first 2 shown]
	v_mul_f64 v[68:69], v[98:99], s[16:17]
	v_add_f64 v[72:73], v[28:29], v[72:73]
	v_add_f64 v[54:55], v[54:55], v[70:71]
	;; [unrolled: 1-line block ×4, first 2 shown]
	v_mul_f64 v[185:186], v[98:99], s[8:9]
	v_mul_f64 v[175:176], v[98:99], s[6:7]
	;; [unrolled: 1-line block ×3, first 2 shown]
	v_add_f64 v[80:81], v[80:81], -v[171:172]
	v_add_f64 v[76:77], v[76:77], -v[153:154]
	v_add_f64 v[74:75], v[30:31], v[74:75]
	v_mul_f64 v[153:154], v[102:103], s[6:7]
	v_mul_f64 v[70:71], v[96:97], s[8:9]
	;; [unrolled: 1-line block ×4, first 2 shown]
	v_add_f64 v[52:53], v[52:53], v[64:65]
	v_mul_f64 v[64:65], v[102:103], s[18:19]
	v_add_f64 v[68:69], v[143:144], v[68:69]
	v_add_f64 v[72:73], v[109:110], v[72:73]
	;; [unrolled: 1-line block ×12, first 2 shown]
	v_mul_f64 v[66:67], v[100:101], s[6:7]
	v_mul_f64 v[100:101], v[100:101], s[16:17]
	v_add_f64 v[96:97], v[96:97], -v[203:204]
	v_add_f64 v[70:71], v[70:71], -v[149:150]
	v_mul_f64 v[223:224], v[107:108], s[4:5]
	v_add_f64 v[52:53], v[52:53], v[56:57]
	v_add_f64 v[64:65], v[139:140], v[64:65]
	v_mul_f64 v[56:57], v[107:108], s[10:11]
	v_add_f64 v[72:73], v[141:142], v[72:73]
	v_add_f64 v[78:79], v[94:95], v[78:79]
	;; [unrolled: 1-line block ×3, first 2 shown]
	v_add_f64 v[94:95], v[147:148], -v[137:138]
	v_add_f64 v[84:85], v[155:156], v[84:85]
	v_add_f64 v[80:81], v[163:164], v[80:81]
	;; [unrolled: 1-line block ×5, first 2 shown]
	v_mul_f64 v[58:59], v[105:106], s[4:5]
	v_add_f64 v[66:67], v[66:67], -v[165:166]
	v_add_f64 v[86:87], v[96:97], v[86:87]
	v_add_f64 v[96:97], v[195:196], v[223:224]
	;; [unrolled: 1-line block ×6, first 2 shown]
	v_add_f64 v[98:99], v[244:245], -v[115:116]
	v_add_f64 v[74:75], v[183:184], v[80:81]
	v_add_f64 v[70:71], v[70:71], v[76:77]
	v_add_f64 v[64:65], v[64:65], v[68:69]
	v_add_f64 v[68:69], v[94:95], v[72:73]
	v_add_f64 v[50:51], v[54:55], v[50:51]
	v_add_f64 v[54:55], v[100:101], -v[207:208]
	v_add_f64 v[58:59], v[58:59], -v[159:160]
	v_add_f64 v[76:77], v[205:206], v[177:178]
	v_add_f64 v[80:81], v[179:180], -v[199:200]
	v_add_f64 v[72:73], v[215:216], v[232:233]
	v_add_f64 v[44:45], v[48:49], v[44:45]
	;; [unrolled: 1-line block ×9, first 2 shown]
	s_waitcnt vmcnt(0)
	v_add_f64 v[62:63], v[119:120], v[62:63]
	s_clause 0x5
	buffer_load_dword v119, off, s[44:47], 0 offset:16
	buffer_load_dword v120, off, s[44:47], 0 offset:20
	;; [unrolled: 1-line block ×4, first 2 shown]
	buffer_load_dword v248, off, s[44:47], 0
	buffer_load_dword v249, off, s[44:47], 0 offset:4
	v_add_f64 v[30:31], v[30:31], v[62:63]
	v_mul_f64 v[62:63], v[105:106], s[10:11]
	v_mul_f64 v[105:106], v[105:106], s[6:7]
	v_add_f64 v[62:63], v[62:63], -v[129:130]
	v_add_f64 v[50:51], v[105:106], -v[213:214]
	v_add_f64 v[62:63], v[62:63], v[68:69]
	v_add_f64 v[50:51], v[50:51], v[54:55]
	;; [unrolled: 1-line block ×4, first 2 shown]
	s_waitcnt vmcnt(4)
	v_add_f64 v[60:61], v[60:61], -v[119:120]
	v_mul_f64 v[119:120], v[102:103], s[8:9]
	v_mul_f64 v[102:103], v[102:103], s[16:17]
	s_waitcnt vmcnt(0)
	v_add_f64 v[88:89], v[88:89], -v[248:249]
	v_add_f64 v[90:91], v[246:247], v[90:91]
	v_mul_f64 v[246:247], v[121:122], s[18:19]
	v_mul_f64 v[248:249], v[123:124], s[18:19]
	;; [unrolled: 1-line block ×4, first 2 shown]
	v_add_f64 v[28:29], v[28:29], v[60:61]
	v_mul_f64 v[60:61], v[107:108], s[18:19]
	v_add_f64 v[52:53], v[209:210], v[102:103]
	v_mul_f64 v[107:108], v[107:108], s[6:7]
	v_add_f64 v[30:31], v[90:91], v[30:31]
	v_add_f64 v[100:101], v[135:136], v[119:120]
	v_add_f64 v[102:103], v[171:172], -v[133:134]
	v_add_f64 v[90:91], v[161:162], -v[191:192]
	v_add_f64 v[44:45], v[221:222], v[123:124]
	v_add_f64 v[46:47], v[121:122], -v[219:220]
	v_add_f64 v[86:87], v[246:247], -v[197:198]
	v_add_f64 v[28:29], v[88:89], v[28:29]
	v_add_f64 v[88:89], v[193:194], v[242:243]
	;; [unrolled: 1-line block ×7, first 2 shown]
	v_add_f64 v[90:91], v[228:229], -v[169:170]
	v_add_f64 v[74:75], v[127:128], -v[211:212]
	v_add_f64 v[28:29], v[113:114], v[28:29]
	v_add_f64 v[78:79], v[88:89], v[82:83]
	;; [unrolled: 1-line block ×3, first 2 shown]
	s_clause 0x3
	buffer_load_dword v92, off, s[44:47], 0 offset:40
	buffer_load_dword v93, off, s[44:47], 0 offset:44
	;; [unrolled: 1-line block ×4, first 2 shown]
	v_add_f64 v[30:31], v[100:101], v[30:31]
	v_add_f64 v[48:49], v[48:49], v[52:53]
	;; [unrolled: 1-line block ×20, first 2 shown]
	v_mov_b32_e32 v52, 4
	v_lshlrev_b32_sdwa v52, v52, v227 dst_sel:DWORD dst_unused:UNUSED_PAD src0_sel:DWORD src1_sel:WORD_0
	s_waitcnt vmcnt(2)
	v_add_f64 v[92:93], v[92:93], v[230:231]
	s_waitcnt vmcnt(0)
	v_add_f64 v[94:95], v[234:235], -v[94:95]
	v_add_f64 v[50:51], v[92:93], v[60:61]
	v_add_f64 v[48:49], v[94:95], v[64:65]
	ds_write_b128 v52, v[24:27] offset:96
	ds_write_b128 v52, v[20:23] offset:112
	;; [unrolled: 1-line block ×11, first 2 shown]
	ds_write_b128 v52, v[36:39]
	ds_write_b128 v52, v[0:3] offset:192
.LBB0_7:
	s_or_b32 exec_lo, exec_lo, s20
	v_add_co_u32 v64, null, 0x75, v226
	v_and_b32_e32 v77, 0xff, v226
	s_load_dwordx4 s[4:7], s[0:1], 0x0
	s_waitcnt lgkmcnt(0)
	v_and_b32_e32 v28, 0xff, v64
	s_barrier
	v_mul_lo_u16 v29, 0x4f, v77
	buffer_gl0_inv
	v_mov_b32_e32 v44, 4
	v_mul_lo_u16 v28, 0x4f, v28
	s_mov_b32 s8, 0xe8584caa
	v_lshrrev_b16 v89, 10, v29
	s_mov_b32 s9, 0x3febb67a
	v_lshlrev_b32_sdwa v153, v44, v226 dst_sel:DWORD dst_unused:UNUSED_PAD src0_sel:DWORD src1_sel:WORD_0
	v_lshrrev_b16 v90, 10, v28
	s_mov_b32 s11, 0xbfebb67a
	v_mul_lo_u16 v28, v89, 13
	s_mov_b32 s10, s8
	v_lshlrev_b32_e32 v110, 5, v226
	v_mul_lo_u16 v29, v90, 13
	v_sub_nc_u16 v28, v226, v28
	v_sub_nc_u16 v29, v64, v29
	v_and_b32_e32 v91, 0xff, v28
	v_and_b32_e32 v92, 0xff, v29
	v_lshlrev_b32_e32 v28, 5, v91
	v_lshlrev_b32_e32 v36, 5, v92
	s_clause 0x3
	global_load_dwordx4 v[32:35], v28, s[2:3]
	global_load_dwordx4 v[28:31], v28, s[2:3] offset:16
	global_load_dwordx4 v[40:43], v36, s[2:3]
	global_load_dwordx4 v[36:39], v36, s[2:3] offset:16
	ds_read_b128 v[44:47], v153 offset:3744
	ds_read_b128 v[48:51], v153 offset:7488
	;; [unrolled: 1-line block ×4, first 2 shown]
	s_waitcnt vmcnt(3) lgkmcnt(3)
	v_mul_f64 v[60:61], v[46:47], v[34:35]
	s_waitcnt vmcnt(2) lgkmcnt(2)
	v_mul_f64 v[62:63], v[50:51], v[30:31]
	v_mul_f64 v[65:66], v[44:45], v[34:35]
	;; [unrolled: 1-line block ×3, first 2 shown]
	s_waitcnt vmcnt(1) lgkmcnt(1)
	v_mul_f64 v[69:70], v[54:55], v[42:43]
	s_waitcnt vmcnt(0) lgkmcnt(0)
	v_mul_f64 v[71:72], v[58:59], v[38:39]
	v_mul_f64 v[73:74], v[52:53], v[42:43]
	;; [unrolled: 1-line block ×3, first 2 shown]
	v_fma_f64 v[60:61], v[44:45], v[32:33], -v[60:61]
	v_fma_f64 v[62:63], v[48:49], v[28:29], -v[62:63]
	v_fma_f64 v[65:66], v[46:47], v[32:33], v[65:66]
	v_fma_f64 v[67:68], v[50:51], v[28:29], v[67:68]
	v_fma_f64 v[52:53], v[52:53], v[40:41], -v[69:70]
	v_fma_f64 v[56:57], v[56:57], v[36:37], -v[71:72]
	v_fma_f64 v[54:55], v[54:55], v[40:41], v[73:74]
	v_fma_f64 v[58:59], v[58:59], v[36:37], v[75:76]
	v_mul_lo_u16 v44, 0xa5, v77
	v_lshrrev_b16 v77, 8, v44
	ds_read_b128 v[44:47], v153
	ds_read_b128 v[48:51], v153 offset:1872
	s_waitcnt lgkmcnt(0)
	s_barrier
	buffer_gl0_inv
	v_sub_nc_u16 v75, v226, v77
	v_lshrrev_b16 v78, 1, v75
	v_add_f64 v[69:70], v[60:61], v[62:63]
	v_add_f64 v[71:72], v[65:66], v[67:68]
	v_add_f64 v[79:80], v[65:66], -v[67:68]
	v_add_f64 v[73:74], v[52:53], v[56:57]
	v_and_b32_e32 v78, 0x7f, v78
	v_add_f64 v[75:76], v[54:55], v[58:59]
	v_add_f64 v[85:86], v[54:55], -v[58:59]
	v_add_f64 v[87:88], v[52:53], -v[56:57]
	v_add_nc_u16 v93, v78, v77
	v_add_f64 v[81:82], v[48:49], v[52:53]
	v_add_f64 v[77:78], v[44:45], v[60:61]
	;; [unrolled: 1-line block ×3, first 2 shown]
	v_add_f64 v[60:61], v[60:61], -v[62:63]
	v_add_f64 v[83:84], v[50:51], v[54:55]
	v_fma_f64 v[69:70], v[69:70], -0.5, v[44:45]
	v_fma_f64 v[71:72], v[71:72], -0.5, v[46:47]
	v_lshrrev_b16 v44, 5, v93
	v_fma_f64 v[73:74], v[73:74], -0.5, v[48:49]
	v_mov_b32_e32 v93, 39
	v_fma_f64 v[75:76], v[75:76], -0.5, v[50:51]
	v_and_b32_e32 v103, 7, v44
	v_add_f64 v[48:49], v[81:82], v[56:57]
	v_add_f64 v[44:45], v[77:78], v[62:63]
	v_add_f64 v[46:47], v[65:66], v[67:68]
	v_add_f64 v[50:51], v[83:84], v[58:59]
	v_fma_f64 v[52:53], v[79:80], s[8:9], v[69:70]
	v_fma_f64 v[56:57], v[79:80], s[10:11], v[69:70]
	v_mul_lo_u16 v69, v103, 39
	v_fma_f64 v[54:55], v[60:61], s[10:11], v[71:72]
	v_fma_f64 v[58:59], v[60:61], s[8:9], v[71:72]
	;; [unrolled: 1-line block ×4, first 2 shown]
	v_sub_nc_u16 v69, v226, v69
	v_fma_f64 v[65:66], v[85:86], s[10:11], v[73:74]
	v_fma_f64 v[67:68], v[87:88], s[8:9], v[75:76]
	v_mul_u32_u24_sdwa v70, v89, v93 dst_sel:DWORD dst_unused:UNUSED_PAD src0_sel:WORD_0 src1_sel:DWORD
	v_mul_u32_u24_sdwa v71, v90, v93 dst_sel:DWORD dst_unused:UNUSED_PAD src0_sel:WORD_0 src1_sel:DWORD
	v_and_b32_e32 v109, 0xff, v69
	v_add_lshl_u32 v155, v70, v91, 4
	v_add_lshl_u32 v154, v71, v92, 4
	v_mad_u64_u32 v[69:70], null, 0x50, v109, s[2:3]
	ds_write_b128 v155, v[44:47]
	ds_write_b128 v155, v[52:55] offset:208
	ds_write_b128 v155, v[56:59] offset:416
	ds_write_b128 v154, v[48:51]
	ds_write_b128 v154, v[60:63] offset:208
	ds_write_b128 v154, v[65:68] offset:416
	s_waitcnt lgkmcnt(0)
	s_barrier
	buffer_gl0_inv
	s_clause 0x4
	global_load_dwordx4 v[44:47], v[69:70], off offset:448
	global_load_dwordx4 v[60:63], v[69:70], off offset:480
	;; [unrolled: 1-line block ×5, first 2 shown]
	ds_read_b128 v[65:68], v153 offset:5616
	ds_read_b128 v[69:72], v153 offset:9360
	ds_read_b128 v[73:76], v153 offset:1872
	ds_read_b128 v[77:80], v153 offset:3744
	ds_read_b128 v[81:84], v153 offset:7488
	s_waitcnt vmcnt(4) lgkmcnt(4)
	v_mul_f64 v[85:86], v[67:68], v[46:47]
	v_mul_f64 v[87:88], v[65:66], v[46:47]
	s_waitcnt vmcnt(3) lgkmcnt(3)
	v_mul_f64 v[89:90], v[69:70], v[62:63]
	v_mul_f64 v[91:92], v[71:72], v[62:63]
	;; [unrolled: 3-line block ×3, first 2 shown]
	v_fma_f64 v[85:86], v[65:66], v[44:45], -v[85:86]
	v_fma_f64 v[87:88], v[67:68], v[44:45], v[87:88]
	v_fma_f64 v[71:72], v[71:72], v[60:61], v[89:90]
	v_fma_f64 v[69:70], v[69:70], v[60:61], -v[91:92]
	s_waitcnt vmcnt(1) lgkmcnt(1)
	v_mul_f64 v[65:66], v[79:80], v[58:59]
	v_mul_f64 v[67:68], v[77:78], v[58:59]
	s_waitcnt vmcnt(0) lgkmcnt(0)
	v_mul_f64 v[89:90], v[83:84], v[54:55]
	v_mul_f64 v[91:92], v[81:82], v[54:55]
	v_fma_f64 v[73:74], v[73:74], v[48:49], -v[93:94]
	v_fma_f64 v[75:76], v[75:76], v[48:49], v[95:96]
	v_add_f64 v[93:94], v[87:88], v[71:72]
	v_add_f64 v[95:96], v[85:86], v[69:70]
	v_fma_f64 v[77:78], v[77:78], v[56:57], -v[65:66]
	v_fma_f64 v[79:80], v[79:80], v[56:57], v[67:68]
	v_fma_f64 v[81:82], v[81:82], v[52:53], -v[89:90]
	v_fma_f64 v[83:84], v[83:84], v[52:53], v[91:92]
	v_add_f64 v[89:90], v[87:88], -v[71:72]
	v_add_f64 v[91:92], v[85:86], -v[69:70]
	ds_read_b128 v[65:68], v153
	s_waitcnt lgkmcnt(0)
	s_barrier
	buffer_gl0_inv
	v_fma_f64 v[93:94], v[93:94], -0.5, v[75:76]
	v_fma_f64 v[95:96], v[95:96], -0.5, v[73:74]
	v_add_f64 v[73:74], v[73:74], v[85:86]
	v_add_f64 v[75:76], v[75:76], v[87:88]
	;; [unrolled: 1-line block ×4, first 2 shown]
	v_fma_f64 v[101:102], v[91:92], s[10:11], v[93:94]
	v_fma_f64 v[105:106], v[89:90], s[10:11], v[95:96]
	;; [unrolled: 1-line block ×4, first 2 shown]
	v_add_f64 v[93:94], v[65:66], v[77:78]
	v_add_f64 v[95:96], v[79:80], -v[83:84]
	v_add_f64 v[79:80], v[67:68], v[79:80]
	v_fma_f64 v[65:66], v[97:98], -0.5, v[65:66]
	v_add_f64 v[77:78], v[77:78], -v[81:82]
	v_fma_f64 v[67:68], v[99:100], -0.5, v[67:68]
	v_add_f64 v[69:70], v[73:74], v[69:70]
	v_add_f64 v[71:72], v[75:76], v[71:72]
	v_mul_f64 v[85:86], v[101:102], s[8:9]
	v_mul_f64 v[87:88], v[105:106], -0.5
	v_mul_f64 v[97:98], v[89:90], s[10:11]
	v_mul_f64 v[99:100], v[91:92], -0.5
	v_add_f64 v[81:82], v[93:94], v[81:82]
	v_add_f64 v[79:80], v[79:80], v[83:84]
	v_fma_f64 v[83:84], v[95:96], s[8:9], v[65:66]
	v_fma_f64 v[93:94], v[95:96], s[10:11], v[65:66]
	;; [unrolled: 1-line block ×4, first 2 shown]
	v_add_co_u32 v65, s0, s2, v110
	v_add_co_ci_u32_e64 v66, null, s3, 0, s0
	v_fma_f64 v[85:86], v[89:90], 0.5, v[85:86]
	v_fma_f64 v[87:88], v[91:92], s[8:9], v[87:88]
	v_fma_f64 v[89:90], v[101:102], 0.5, v[97:98]
	v_fma_f64 v[91:92], v[105:106], s[10:11], v[99:100]
	v_add_co_u32 v97, s0, 0xdd0, v65
	v_add_co_ci_u32_e64 v98, s0, 0, v66, s0
	v_add_co_u32 v99, s0, 0x800, v65
	v_lshlrev_b32_e32 v102, 5, v64
	v_add_co_ci_u32_e64 v100, s0, 0, v66, s0
	v_add_f64 v[64:65], v[81:82], v[69:70]
	v_add_f64 v[66:67], v[79:80], v[71:72]
	v_add_f64 v[68:69], v[81:82], -v[69:70]
	v_add_f64 v[70:71], v[79:80], -v[71:72]
	v_mov_b32_e32 v101, 0xea
	v_add_f64 v[72:73], v[83:84], v[85:86]
	v_add_f64 v[76:77], v[93:94], v[87:88]
	;; [unrolled: 1-line block ×4, first 2 shown]
	v_add_f64 v[80:81], v[83:84], -v[85:86]
	v_add_f64 v[82:83], v[95:96], -v[89:90]
	;; [unrolled: 1-line block ×4, first 2 shown]
	v_add_co_u32 v90, s0, s2, v102
	v_add_co_ci_u32_e64 v91, null, s3, 0, s0
	v_mul_u32_u24_sdwa v92, v103, v101 dst_sel:DWORD dst_unused:UNUSED_PAD src0_sel:WORD_0 src1_sel:DWORD
	v_add_co_u32 v88, s0, 0xdd0, v90
	v_add_co_ci_u32_e64 v89, s0, 0, v91, s0
	v_add_lshl_u32 v156, v92, v109, 4
	v_add_co_u32 v90, s0, 0x800, v90
	v_add_co_ci_u32_e64 v91, s0, 0, v91, s0
	ds_write_b128 v156, v[64:67]
	ds_write_b128 v156, v[68:71] offset:1872
	ds_write_b128 v156, v[72:75] offset:624
	;; [unrolled: 1-line block ×5, first 2 shown]
	s_waitcnt lgkmcnt(0)
	s_barrier
	buffer_gl0_inv
	s_clause 0x3
	global_load_dwordx4 v[64:67], v[99:100], off offset:1488
	global_load_dwordx4 v[68:71], v[97:98], off offset:16
	;; [unrolled: 1-line block ×4, first 2 shown]
	ds_read_b128 v[80:83], v153 offset:3744
	ds_read_b128 v[84:87], v153 offset:7488
	;; [unrolled: 1-line block ×4, first 2 shown]
	s_waitcnt vmcnt(3) lgkmcnt(3)
	v_mul_f64 v[96:97], v[82:83], v[66:67]
	s_waitcnt vmcnt(2) lgkmcnt(2)
	v_mul_f64 v[98:99], v[86:87], v[70:71]
	v_mul_f64 v[100:101], v[80:81], v[66:67]
	;; [unrolled: 1-line block ×3, first 2 shown]
	s_waitcnt vmcnt(1) lgkmcnt(1)
	v_mul_f64 v[105:106], v[90:91], v[74:75]
	s_waitcnt vmcnt(0) lgkmcnt(0)
	v_mul_f64 v[107:108], v[94:95], v[78:79]
	v_mul_f64 v[109:110], v[88:89], v[74:75]
	;; [unrolled: 1-line block ×3, first 2 shown]
	v_fma_f64 v[96:97], v[80:81], v[64:65], -v[96:97]
	v_fma_f64 v[98:99], v[84:85], v[68:69], -v[98:99]
	v_fma_f64 v[100:101], v[82:83], v[64:65], v[100:101]
	v_fma_f64 v[102:103], v[86:87], v[68:69], v[102:103]
	v_fma_f64 v[88:89], v[88:89], v[72:73], -v[105:106]
	v_fma_f64 v[92:93], v[92:93], v[76:77], -v[107:108]
	v_fma_f64 v[90:91], v[90:91], v[72:73], v[109:110]
	v_fma_f64 v[94:95], v[94:95], v[76:77], v[111:112]
	ds_read_b128 v[80:83], v153
	ds_read_b128 v[84:87], v153 offset:1872
	v_add_f64 v[105:106], v[96:97], v[98:99]
	v_add_f64 v[121:122], v[96:97], -v[98:99]
	v_add_f64 v[107:108], v[100:101], v[102:103]
	v_add_f64 v[115:116], v[100:101], -v[102:103]
	v_add_f64 v[109:110], v[88:89], v[92:93]
	s_waitcnt lgkmcnt(1)
	v_add_f64 v[113:114], v[80:81], v[96:97]
	v_add_f64 v[111:112], v[90:91], v[94:95]
	v_add_f64 v[100:101], v[82:83], v[100:101]
	s_waitcnt lgkmcnt(0)
	v_add_f64 v[117:118], v[84:85], v[88:89]
	v_add_f64 v[119:120], v[86:87], v[90:91]
	v_add_f64 v[90:91], v[90:91], -v[94:95]
	v_fma_f64 v[105:106], v[105:106], -0.5, v[80:81]
	v_fma_f64 v[107:108], v[107:108], -0.5, v[82:83]
	;; [unrolled: 1-line block ×3, first 2 shown]
	v_add_f64 v[109:110], v[88:89], -v[92:93]
	v_fma_f64 v[86:87], v[111:112], -0.5, v[86:87]
	v_add_f64 v[80:81], v[113:114], v[98:99]
	v_add_f64 v[82:83], v[100:101], v[102:103]
	;; [unrolled: 1-line block ×4, first 2 shown]
	v_fma_f64 v[100:101], v[115:116], s[8:9], v[105:106]
	v_fma_f64 v[96:97], v[115:116], s[10:11], v[105:106]
	;; [unrolled: 1-line block ×8, first 2 shown]
	ds_write_b128 v153, v[80:83]
	ds_write_b128 v153, v[92:95] offset:1872
	ds_write_b128 v153, v[100:103] offset:3744
	;; [unrolled: 1-line block ×5, first 2 shown]
	s_waitcnt lgkmcnt(0)
	s_barrier
	buffer_gl0_inv
	s_and_saveexec_b32 s1, vcc_lo
	s_cbranch_execz .LBB0_9
; %bb.8:
	v_add_co_u32 v141, s0, s14, v225
	v_add_co_ci_u32_e64 v142, null, s15, 0, s0
	v_add_co_u32 v105, s0, 0x2800, v141
	v_add_co_ci_u32_e64 v106, s0, 0, v142, s0
	v_add_co_u32 v113, s0, 0x2be0, v141
	v_add_co_ci_u32_e64 v114, s0, 0, v142, s0
	global_load_dwordx4 v[105:108], v[105:106], off offset:992
	v_add_co_u32 v117, s0, 0x3000, v141
	v_add_co_ci_u32_e64 v118, s0, 0, v142, s0
	v_add_co_u32 v125, s0, 0x3800, v141
	v_add_co_ci_u32_e64 v126, s0, 0, v142, s0
	;; [unrolled: 2-line block ×3, first 2 shown]
	s_clause 0x3
	global_load_dwordx4 v[109:112], v[113:114], off offset:864
	global_load_dwordx4 v[113:116], v[113:114], off offset:1728
	;; [unrolled: 1-line block ×4, first 2 shown]
	v_add_co_u32 v145, s0, 0x4800, v141
	v_add_co_ci_u32_e64 v146, s0, 0, v142, s0
	v_add_co_u32 v157, s0, 0x5000, v141
	s_clause 0x3
	global_load_dwordx4 v[125:128], v[125:126], off offset:1216
	global_load_dwordx4 v[129:132], v[137:138], off offset:32
	;; [unrolled: 1-line block ×4, first 2 shown]
	v_add_co_ci_u32_e64 v158, s0, 0, v142, s0
	s_clause 0x3
	global_load_dwordx4 v[141:144], v[145:146], off offset:576
	global_load_dwordx4 v[145:148], v[145:146], off offset:1440
	;; [unrolled: 1-line block ×4, first 2 shown]
	ds_read_b128 v[161:164], v153
	s_waitcnt vmcnt(12) lgkmcnt(0)
	v_mul_f64 v[165:166], v[163:164], v[107:108]
	v_mul_f64 v[107:108], v[161:162], v[107:108]
	v_fma_f64 v[161:162], v[161:162], v[105:106], -v[165:166]
	v_fma_f64 v[163:164], v[163:164], v[105:106], v[107:108]
	ds_write_b128 v153, v[161:164]
	ds_read_b128 v[105:108], v225 offset:864
	ds_read_b128 v[161:164], v225 offset:1728
	;; [unrolled: 1-line block ×12, first 2 shown]
	s_waitcnt vmcnt(11) lgkmcnt(11)
	v_mul_f64 v[205:206], v[107:108], v[111:112]
	v_mul_f64 v[111:112], v[105:106], v[111:112]
	s_waitcnt vmcnt(10) lgkmcnt(10)
	v_mul_f64 v[207:208], v[163:164], v[115:116]
	v_mul_f64 v[115:116], v[161:162], v[115:116]
	;; [unrolled: 3-line block ×12, first 2 shown]
	v_fma_f64 v[105:106], v[105:106], v[109:110], -v[205:206]
	v_fma_f64 v[107:108], v[107:108], v[109:110], v[111:112]
	v_fma_f64 v[109:110], v[161:162], v[113:114], -v[207:208]
	v_fma_f64 v[111:112], v[163:164], v[113:114], v[115:116]
	;; [unrolled: 2-line block ×12, first 2 shown]
	ds_write_b128 v225, v[105:108] offset:864
	ds_write_b128 v225, v[109:112] offset:1728
	;; [unrolled: 1-line block ×12, first 2 shown]
.LBB0_9:
	s_or_b32 exec_lo, exec_lo, s1
	s_waitcnt lgkmcnt(0)
	s_barrier
	buffer_gl0_inv
	s_and_saveexec_b32 s0, vcc_lo
	s_cbranch_execz .LBB0_11
; %bb.10:
	ds_read_b128 v[80:83], v153
	ds_read_b128 v[100:103], v153 offset:864
	ds_read_b128 v[96:99], v153 offset:1728
	;; [unrolled: 1-line block ×12, first 2 shown]
.LBB0_11:
	s_or_b32 exec_lo, exec_lo, s0
	s_waitcnt lgkmcnt(0)
	s_barrier
	buffer_gl0_inv
	s_and_saveexec_b32 s33, vcc_lo
	s_cbranch_execz .LBB0_13
; %bb.12:
	v_add_f64 v[117:118], v[100:101], -v[0:1]
	v_add_f64 v[137:138], v[102:103], -v[2:3]
	s_mov_b32 s8, 0x4bc48dbf
	s_mov_b32 s9, 0xbfcea1e5
	v_add_f64 v[135:136], v[96:97], -v[4:5]
	v_add_f64 v[133:134], v[98:99], -v[6:7]
	v_add_f64 v[125:126], v[102:103], v[2:3]
	v_add_f64 v[123:124], v[100:101], v[0:1]
	s_mov_b32 s0, 0x93053d00
	s_mov_b32 s29, 0x3fddbe06
	;; [unrolled: 1-line block ×4, first 2 shown]
	v_add_f64 v[127:128], v[92:93], -v[8:9]
	v_add_f64 v[119:120], v[98:99], v[6:7]
	v_add_f64 v[131:132], v[94:95], -v[10:11]
	v_add_f64 v[121:122], v[96:97], v[4:5]
	s_mov_b32 s18, 0x24c2f84
	s_mov_b32 s19, 0xbfe5384d
	;; [unrolled: 1-line block ×4, first 2 shown]
	v_add_f64 v[115:116], v[88:89], -v[12:13]
	v_add_f64 v[145:146], v[94:95], v[10:11]
	v_mul_f64 v[129:130], v[117:118], s[8:9]
	v_mul_f64 v[139:140], v[137:138], s[8:9]
	;; [unrolled: 1-line block ×6, first 2 shown]
	v_add_f64 v[151:152], v[90:91], -v[14:15]
	v_add_f64 v[147:148], v[92:93], v[8:9]
	s_mov_b32 s16, 0x66966769
	s_mov_b32 s24, 0xd0032e0c
	s_mov_b32 s17, 0x3fefc445
	s_mov_b32 s25, 0xbfe7f3cc
	v_mul_f64 v[163:164], v[127:128], s[18:19]
	s_mov_b32 s30, 0x42a4c3d2
	v_mul_f64 v[165:166], v[131:132], s[18:19]
	s_mov_b32 s31, 0x3fea55e2
	v_mul_f64 v[169:170], v[133:134], s[16:17]
	v_add_f64 v[113:114], v[84:85], -v[16:17]
	v_add_f64 v[111:112], v[90:91], v[14:15]
	v_mul_f64 v[167:168], v[135:136], s[16:17]
	v_mul_f64 v[187:188], v[115:116], s[30:31]
	s_mov_b32 s2, 0xebaa3ed8
	v_fma_f64 v[149:150], v[125:126], s[0:1], v[129:130]
	v_fma_f64 v[161:162], v[123:124], s[0:1], -v[139:140]
	v_fma_f64 v[129:130], v[125:126], s[0:1], -v[129:130]
	v_fma_f64 v[139:140], v[123:124], s[0:1], v[139:140]
	v_fma_f64 v[171:172], v[119:120], s[22:23], v[141:142]
	v_fma_f64 v[173:174], v[121:122], s[22:23], -v[143:144]
	v_fma_f64 v[141:142], v[119:120], s[22:23], -v[141:142]
	v_fma_f64 v[175:176], v[121:122], s[22:23], v[143:144]
	v_fma_f64 v[179:180], v[123:124], s[24:25], -v[159:160]
	v_fma_f64 v[177:178], v[125:126], s[24:25], v[157:158]
	v_add_f64 v[143:144], v[88:89], v[12:13]
	v_mul_f64 v[189:190], v[151:152], s[30:31]
	v_fma_f64 v[195:196], v[145:146], s[24:25], v[163:164]
	v_fma_f64 v[163:164], v[145:146], s[24:25], -v[163:164]
	v_fma_f64 v[197:198], v[147:148], s[24:25], -v[165:166]
	v_fma_f64 v[165:166], v[147:148], s[24:25], v[165:166]
	s_mov_b32 s3, 0x3fbedb7d
	s_mov_b32 s35, 0xbfea55e2
	;; [unrolled: 1-line block ×6, first 2 shown]
	v_add_f64 v[181:182], v[82:83], v[149:150]
	v_add_f64 v[161:162], v[80:81], v[161:162]
	;; [unrolled: 1-line block ×4, first 2 shown]
	v_add_f64 v[149:150], v[86:87], -v[18:19]
	s_mov_b32 s27, 0x3fe22d96
	v_mul_f64 v[193:194], v[131:132], s[34:35]
	v_fma_f64 v[201:202], v[121:122], s[2:3], -v[169:170]
	v_add_f64 v[179:180], v[80:81], v[179:180]
	v_add_f64 v[109:110], v[24:25], -v[20:21]
	v_add_f64 v[107:108], v[86:87], v[18:19]
	v_add_f64 v[139:140], v[26:27], -v[22:23]
	v_mul_f64 v[191:192], v[127:128], s[34:35]
	v_fma_f64 v[199:200], v[119:120], s[2:3], v[167:168]
	v_add_f64 v[177:178], v[82:83], v[177:178]
	v_fma_f64 v[205:206], v[111:112], s[26:27], v[187:188]
	v_fma_f64 v[207:208], v[143:144], s[26:27], -v[189:190]
	v_fma_f64 v[187:188], v[111:112], s[26:27], -v[187:188]
	v_fma_f64 v[189:190], v[143:144], s[26:27], v[189:190]
	s_mov_b32 s41, 0x3fcea1e5
	s_mov_b32 s40, s8
	;; [unrolled: 1-line block ×3, first 2 shown]
	v_add_f64 v[171:172], v[171:172], v[181:182]
	v_add_f64 v[161:162], v[173:174], v[161:162]
	;; [unrolled: 1-line block ×5, first 2 shown]
	v_mul_f64 v[181:182], v[113:114], s[20:21]
	v_mul_f64 v[183:184], v[149:150], s[20:21]
	s_mov_b32 s11, 0xbfd6b1d8
	v_mul_f64 v[203:204], v[151:152], s[40:41]
	v_fma_f64 v[211:212], v[147:148], s[26:27], -v[193:194]
	v_add_f64 v[179:180], v[201:202], v[179:180]
	v_add_f64 v[105:106], v[26:27], v[22:23]
	;; [unrolled: 1-line block ×3, first 2 shown]
	v_mul_f64 v[185:186], v[115:116], s[40:41]
	v_fma_f64 v[209:210], v[145:146], s[26:27], v[191:192]
	v_add_f64 v[177:178], v[199:200], v[177:178]
	v_fma_f64 v[157:158], v[125:126], s[24:25], -v[157:158]
	v_mul_f64 v[213:214], v[117:118], s[20:21]
	v_fma_f64 v[159:160], v[123:124], s[24:25], v[159:160]
	s_mov_b32 s39, 0xbfefc445
	s_mov_b32 s38, s16
	;; [unrolled: 1-line block ×3, first 2 shown]
	v_add_f64 v[171:172], v[195:196], v[171:172]
	v_add_f64 v[161:162], v[197:198], v[161:162]
	;; [unrolled: 1-line block ×4, first 2 shown]
	v_mul_f64 v[173:174], v[109:110], s[16:17]
	v_mul_f64 v[175:176], v[139:140], s[16:17]
	v_fma_f64 v[215:216], v[107:108], s[10:11], v[181:182]
	v_fma_f64 v[217:218], v[141:142], s[10:11], -v[183:184]
	v_fma_f64 v[181:182], v[107:108], s[10:11], -v[181:182]
	v_fma_f64 v[183:184], v[141:142], s[10:11], v[183:184]
	v_fma_f64 v[221:222], v[143:144], s[0:1], -v[203:204]
	v_add_f64 v[179:180], v[211:212], v[179:180]
	v_mul_f64 v[197:198], v[113:114], s[28:29]
	v_mul_f64 v[201:202], v[149:150], s[28:29]
	v_fma_f64 v[219:220], v[111:112], s[0:1], v[185:186]
	v_add_f64 v[177:178], v[209:210], v[177:178]
	v_fma_f64 v[167:168], v[119:120], s[2:3], -v[167:168]
	v_add_f64 v[157:158], v[82:83], v[157:158]
	v_mul_f64 v[209:210], v[117:118], s[38:39]
	v_fma_f64 v[228:229], v[125:126], s[10:11], v[213:214]
	v_fma_f64 v[169:170], v[121:122], s[2:3], v[169:170]
	v_add_f64 v[159:160], v[80:81], v[159:160]
	v_add_f64 v[171:172], v[205:206], v[171:172]
	;; [unrolled: 1-line block ×5, first 2 shown]
	v_mul_f64 v[207:208], v[137:138], s[20:21]
	v_mul_f64 v[189:190], v[135:136], s[36:37]
	v_fma_f64 v[211:212], v[105:106], s[2:3], v[173:174]
	v_fma_f64 v[223:224], v[129:130], s[2:3], -v[175:176]
	v_fma_f64 v[173:174], v[105:106], s[2:3], -v[173:174]
	v_fma_f64 v[175:176], v[129:130], s[2:3], v[175:176]
	v_mul_f64 v[205:206], v[133:134], s[36:37]
	v_add_f64 v[179:180], v[221:222], v[179:180]
	v_fma_f64 v[213:214], v[125:126], s[10:11], -v[213:214]
	v_fma_f64 v[230:231], v[107:108], s[22:23], v[197:198]
	v_fma_f64 v[232:233], v[141:142], s[22:23], -v[201:202]
	v_add_f64 v[177:178], v[219:220], v[177:178]
	v_fma_f64 v[193:194], v[147:148], s[26:27], v[193:194]
	v_add_f64 v[167:168], v[167:168], v[157:158]
	v_add_f64 v[102:103], v[82:83], v[102:103]
	;; [unrolled: 1-line block ×9, first 2 shown]
	v_fma_f64 v[181:182], v[145:146], s[26:27], -v[191:192]
	v_mul_f64 v[191:192], v[137:138], s[38:39]
	v_fma_f64 v[221:222], v[123:124], s[10:11], -v[207:208]
	v_mul_f64 v[183:184], v[135:136], s[8:9]
	v_fma_f64 v[219:220], v[119:120], s[24:25], v[189:190]
	v_fma_f64 v[207:208], v[123:124], s[10:11], v[207:208]
	v_mul_f64 v[187:188], v[127:128], s[28:29]
	v_fma_f64 v[189:190], v[119:120], s[24:25], -v[189:190]
	v_add_f64 v[213:214], v[82:83], v[213:214]
	s_mov_b32 s43, 0x3fedeba7
	s_mov_b32 s42, s20
	v_fma_f64 v[185:186], v[111:112], s[0:1], -v[185:186]
	v_add_f64 v[177:178], v[230:231], v[177:178]
	v_add_f64 v[179:180], v[232:233], v[179:180]
	v_fma_f64 v[203:204], v[143:144], s[0:1], v[203:204]
	v_mul_f64 v[230:231], v[131:132], s[42:43]
	v_add_f64 v[98:99], v[102:103], v[98:99]
	v_add_f64 v[169:170], v[193:194], v[169:170]
	;; [unrolled: 1-line block ×6, first 2 shown]
	v_fma_f64 v[165:166], v[125:126], s[2:3], v[209:210]
	v_mul_f64 v[171:172], v[133:134], s[8:9]
	v_fma_f64 v[173:174], v[123:124], s[2:3], -v[191:192]
	v_mul_f64 v[211:212], v[131:132], s[28:29]
	v_fma_f64 v[223:224], v[121:122], s[24:25], -v[205:206]
	v_add_f64 v[221:222], v[80:81], v[221:222]
	v_add_f64 v[167:168], v[181:182], v[167:168]
	;; [unrolled: 1-line block ×3, first 2 shown]
	v_fma_f64 v[205:206], v[121:122], s[24:25], v[205:206]
	v_add_f64 v[207:208], v[80:81], v[207:208]
	v_mul_f64 v[193:194], v[127:128], s[42:43]
	v_fma_f64 v[228:229], v[119:120], s[0:1], v[183:184]
	v_add_f64 v[96:97], v[100:101], v[96:97]
	v_mul_f64 v[175:176], v[115:116], s[38:39]
	v_fma_f64 v[181:182], v[145:146], s[22:23], v[187:188]
	v_mul_f64 v[238:239], v[151:152], s[38:39]
	v_fma_f64 v[102:103], v[145:146], s[22:23], -v[187:188]
	v_add_f64 v[187:188], v[189:190], v[213:214]
	v_fma_f64 v[197:198], v[107:108], s[22:23], -v[197:198]
	v_fma_f64 v[100:101], v[141:142], s[22:23], v[201:202]
	v_add_f64 v[169:170], v[203:204], v[169:170]
	v_mul_f64 v[203:204], v[115:116], s[28:29]
	v_add_f64 v[165:166], v[82:83], v[165:166]
	v_fma_f64 v[232:233], v[121:122], s[0:1], -v[171:172]
	v_add_f64 v[173:174], v[80:81], v[173:174]
	v_fma_f64 v[240:241], v[147:148], s[22:23], -v[211:212]
	v_fma_f64 v[189:190], v[147:148], s[22:23], v[211:212]
	v_add_f64 v[221:222], v[223:224], v[221:222]
	v_add_f64 v[167:168], v[185:186], v[167:168]
	v_fma_f64 v[185:186], v[125:126], s[2:3], -v[209:210]
	v_fma_f64 v[209:210], v[147:148], s[10:11], -v[230:231]
	v_add_f64 v[201:202], v[205:206], v[207:208]
	v_fma_f64 v[205:206], v[145:146], s[10:11], v[193:194]
	v_mul_f64 v[207:208], v[151:152], s[28:29]
	v_add_f64 v[94:95], v[98:99], v[94:95]
	v_add_f64 v[92:93], v[96:97], v[92:93]
	;; [unrolled: 1-line block ×3, first 2 shown]
	v_mul_f64 v[219:220], v[149:150], s[40:41]
	v_fma_f64 v[223:224], v[143:144], s[2:3], -v[238:239]
	v_fma_f64 v[96:97], v[111:112], s[2:3], -v[175:176]
	v_add_f64 v[102:103], v[102:103], v[187:188]
	v_fma_f64 v[236:237], v[111:112], s[2:3], v[175:176]
	v_fma_f64 v[98:99], v[119:120], s[0:1], -v[183:184]
	v_fma_f64 v[183:184], v[143:144], s[2:3], v[238:239]
	v_add_f64 v[165:166], v[228:229], v[165:166]
	v_mul_f64 v[187:188], v[113:114], s[34:35]
	v_add_f64 v[173:174], v[232:233], v[173:174]
	v_mul_f64 v[234:235], v[113:114], s[40:41]
	v_mul_f64 v[211:212], v[109:110], s[30:31]
	v_add_f64 v[221:222], v[240:241], v[221:222]
	v_add_f64 v[167:168], v[197:198], v[167:168]
	;; [unrolled: 1-line block ×3, first 2 shown]
	v_mul_f64 v[197:198], v[149:150], s[34:35]
	v_add_f64 v[185:186], v[189:190], v[201:202]
	v_fma_f64 v[189:190], v[111:112], s[22:23], v[203:204]
	v_fma_f64 v[201:202], v[143:144], s[22:23], -v[207:208]
	v_add_f64 v[90:91], v[94:95], v[90:91]
	v_add_f64 v[88:89], v[92:93], v[88:89]
	v_fma_f64 v[94:95], v[145:146], s[10:11], -v[193:194]
	v_mul_f64 v[228:229], v[139:140], s[30:31]
	v_add_f64 v[100:101], v[100:101], v[169:170]
	v_fma_f64 v[203:204], v[111:112], s[22:23], -v[203:204]
	v_add_f64 v[96:97], v[96:97], v[102:103]
	v_fma_f64 v[102:103], v[141:142], s[0:1], v[219:220]
	v_add_f64 v[181:182], v[236:237], v[181:182]
	v_mul_f64 v[195:196], v[109:110], s[20:21]
	v_add_f64 v[165:166], v[205:206], v[165:166]
	v_fma_f64 v[205:206], v[141:142], s[0:1], -v[219:220]
	v_add_f64 v[173:174], v[209:210], v[173:174]
	v_mul_f64 v[219:220], v[109:110], s[28:29]
	v_fma_f64 v[213:214], v[107:108], s[0:1], v[234:235]
	v_add_f64 v[209:210], v[223:224], v[221:222]
	v_mul_f64 v[221:222], v[139:140], s[28:29]
	s_mov_b32 s29, 0xbfddbe06
	v_add_f64 v[98:99], v[98:99], v[175:176]
	v_add_f64 v[175:176], v[183:184], v[185:186]
	v_fma_f64 v[185:186], v[123:124], s[2:3], v[191:192]
	v_fma_f64 v[191:192], v[107:108], s[26:27], v[187:188]
	v_fma_f64 v[193:194], v[141:142], s[26:27], -v[197:198]
	v_add_f64 v[86:87], v[90:91], v[86:87]
	v_add_f64 v[84:85], v[88:89], v[84:85]
	v_mul_f64 v[88:89], v[137:138], s[28:29]
	v_mul_f64 v[90:91], v[137:138], s[34:35]
	v_fma_f64 v[92:93], v[107:108], s[0:1], -v[234:235]
	v_fma_f64 v[137:138], v[121:122], s[0:1], v[171:172]
	v_fma_f64 v[169:170], v[105:106], s[26:27], v[211:212]
	v_mul_f64 v[183:184], v[109:110], s[18:19]
	v_mul_f64 v[109:110], v[109:110], s[8:9]
	v_add_f64 v[165:166], v[189:190], v[165:166]
	v_fma_f64 v[187:188], v[107:108], s[26:27], -v[187:188]
	v_add_f64 v[173:174], v[201:202], v[173:174]
	v_mul_f64 v[201:202], v[117:118], s[34:35]
	v_mul_f64 v[117:118], v[117:118], s[28:29]
	v_add_f64 v[205:206], v[205:206], v[209:210]
	v_add_f64 v[181:182], v[213:214], v[181:182]
	v_fma_f64 v[213:214], v[129:130], s[26:27], -v[228:229]
	v_add_f64 v[94:95], v[94:95], v[98:99]
	v_fma_f64 v[98:99], v[105:106], s[26:27], -v[211:212]
	v_add_f64 v[171:172], v[80:81], v[185:186]
	v_mul_f64 v[211:212], v[133:134], s[20:21]
	v_mul_f64 v[133:134], v[133:134], s[34:35]
	v_add_f64 v[26:27], v[86:87], v[26:27]
	v_add_f64 v[24:25], v[84:85], v[24:25]
	v_fma_f64 v[84:85], v[123:124], s[22:23], v[88:89]
	v_fma_f64 v[86:87], v[123:124], s[26:27], v[90:91]
	v_fma_f64 v[90:91], v[123:124], s[26:27], -v[90:91]
	v_fma_f64 v[88:89], v[123:124], s[22:23], -v[88:89]
	v_add_f64 v[92:93], v[92:93], v[96:97]
	v_fma_f64 v[96:97], v[129:130], s[26:27], v[228:229]
	v_mul_f64 v[123:124], v[131:132], s[8:9]
	v_add_f64 v[165:166], v[191:192], v[165:166]
	v_mul_f64 v[191:192], v[135:136], s[20:21]
	v_add_f64 v[173:174], v[193:194], v[173:174]
	v_fma_f64 v[209:210], v[125:126], s[26:27], -v[201:202]
	v_mul_f64 v[135:136], v[135:136], s[34:35]
	v_fma_f64 v[193:194], v[125:126], s[22:23], -v[117:118]
	v_fma_f64 v[201:202], v[125:126], s[26:27], v[201:202]
	v_fma_f64 v[117:118], v[125:126], s[22:23], v[117:118]
	v_mul_f64 v[125:126], v[127:128], s[8:9]
	v_mul_f64 v[127:128], v[127:128], s[38:39]
	v_add_f64 v[137:138], v[137:138], v[171:172]
	v_add_f64 v[94:95], v[203:204], v[94:95]
	v_fma_f64 v[203:204], v[143:144], s[22:23], v[207:208]
	v_add_f64 v[22:23], v[26:27], v[22:23]
	v_add_f64 v[20:21], v[24:25], v[20:21]
	v_fma_f64 v[207:208], v[147:148], s[10:11], v[230:231]
	v_mul_f64 v[131:132], v[131:132], s[38:39]
	v_fma_f64 v[230:231], v[121:122], s[26:27], v[133:134]
	v_add_f64 v[24:25], v[80:81], v[84:85]
	v_fma_f64 v[223:224], v[121:122], s[10:11], v[211:212]
	v_add_f64 v[26:27], v[80:81], v[86:87]
	v_add_f64 v[90:91], v[80:81], v[90:91]
	;; [unrolled: 1-line block ×3, first 2 shown]
	v_fma_f64 v[171:172], v[119:120], s[10:11], -v[191:192]
	v_fma_f64 v[86:87], v[119:120], s[10:11], v[191:192]
	v_add_f64 v[209:210], v[82:83], v[209:210]
	v_fma_f64 v[228:229], v[119:120], s[26:27], -v[135:136]
	v_add_f64 v[193:194], v[82:83], v[193:194]
	v_add_f64 v[191:192], v[82:83], v[201:202]
	v_fma_f64 v[201:202], v[121:122], s[10:11], -v[211:212]
	v_fma_f64 v[119:120], v[119:120], s[26:27], v[135:136]
	v_add_f64 v[82:83], v[82:83], v[117:118]
	v_fma_f64 v[117:118], v[121:122], s[26:27], -v[133:134]
	v_mul_f64 v[84:85], v[115:116], s[36:37]
	v_fma_f64 v[121:122], v[145:146], s[0:1], -v[125:126]
	v_mul_f64 v[115:116], v[115:116], s[20:21]
	v_add_f64 v[18:19], v[22:23], v[18:19]
	v_add_f64 v[16:17], v[20:21], v[16:17]
	v_mul_f64 v[88:89], v[151:152], s[36:37]
	v_mul_f64 v[151:152], v[151:152], s[20:21]
	v_add_f64 v[20:21], v[230:231], v[24:25]
	v_fma_f64 v[135:136], v[147:148], s[0:1], v[123:124]
	v_add_f64 v[22:23], v[223:224], v[26:27]
	v_fma_f64 v[26:27], v[145:146], s[0:1], v[125:126]
	v_fma_f64 v[123:124], v[147:148], s[0:1], -v[123:124]
	v_fma_f64 v[125:126], v[145:146], s[2:3], v[127:128]
	v_mul_f64 v[24:25], v[113:114], s[16:17]
	v_add_f64 v[133:134], v[171:172], v[209:210]
	v_fma_f64 v[171:172], v[145:146], s[2:3], -v[127:128]
	v_add_f64 v[193:194], v[228:229], v[193:194]
	v_fma_f64 v[209:210], v[147:148], s[2:3], v[131:132]
	v_add_f64 v[86:87], v[86:87], v[191:192]
	v_add_f64 v[90:91], v[201:202], v[90:91]
	v_add_f64 v[82:83], v[119:120], v[82:83]
	v_fma_f64 v[119:120], v[147:148], s[2:3], -v[131:132]
	v_add_f64 v[80:81], v[117:118], v[80:81]
	v_fma_f64 v[127:128], v[111:112], s[24:25], -v[84:85]
	v_mul_f64 v[113:114], v[113:114], s[18:19]
	v_fma_f64 v[145:146], v[111:112], s[10:11], -v[115:116]
	v_add_f64 v[14:15], v[18:19], v[14:15]
	v_add_f64 v[12:13], v[16:17], v[12:13]
	v_mul_f64 v[117:118], v[149:150], s[16:17]
	v_fma_f64 v[131:132], v[143:144], s[24:25], v[88:89]
	v_mul_f64 v[189:190], v[139:140], s[18:19]
	v_add_f64 v[18:19], v[135:136], v[22:23]
	v_fma_f64 v[22:23], v[111:112], s[24:25], v[84:85]
	v_fma_f64 v[84:85], v[143:144], s[24:25], -v[88:89]
	v_fma_f64 v[88:89], v[111:112], s[10:11], v[115:116]
	v_fma_f64 v[115:116], v[107:108], s[2:3], -v[24:25]
	v_add_f64 v[121:122], v[121:122], v[133:134]
	v_mul_f64 v[133:134], v[149:150], s[18:19]
	v_add_f64 v[147:148], v[171:172], v[193:194]
	v_fma_f64 v[149:150], v[143:144], s[10:11], v[151:152]
	v_add_f64 v[16:17], v[209:210], v[20:21]
	v_add_f64 v[20:21], v[207:208], v[137:138]
	;; [unrolled: 1-line block ×5, first 2 shown]
	v_fma_f64 v[90:91], v[143:144], s[10:11], -v[151:152]
	v_add_f64 v[80:81], v[119:120], v[80:81]
	v_fma_f64 v[125:126], v[107:108], s[24:25], -v[113:114]
	v_add_f64 v[10:11], v[14:15], v[10:11]
	v_add_f64 v[8:9], v[12:13], v[8:9]
	v_mul_f64 v[123:124], v[139:140], s[8:9]
	v_fma_f64 v[111:112], v[141:142], s[26:27], v[197:198]
	v_mul_f64 v[199:200], v[139:140], s[20:21]
	v_add_f64 v[14:15], v[131:132], v[18:19]
	v_fma_f64 v[18:19], v[107:108], s[2:3], v[24:25]
	v_add_f64 v[102:103], v[102:103], v[175:176]
	v_fma_f64 v[215:216], v[105:106], s[10:11], v[195:196]
	v_fma_f64 v[195:196], v[105:106], s[10:11], -v[195:196]
	v_add_f64 v[119:120], v[127:128], v[121:122]
	v_fma_f64 v[135:136], v[141:142], s[24:25], v[133:134]
	v_add_f64 v[127:128], v[145:146], v[147:148]
	v_fma_f64 v[121:122], v[141:142], s[2:3], v[117:118]
	v_add_f64 v[12:13], v[149:150], v[16:17]
	v_add_f64 v[16:17], v[203:204], v[20:21]
	;; [unrolled: 1-line block ×3, first 2 shown]
	v_fma_f64 v[22:23], v[141:142], s[2:3], -v[117:118]
	v_add_f64 v[24:25], v[84:85], v[86:87]
	v_fma_f64 v[26:27], v[107:108], s[24:25], v[113:114]
	v_add_f64 v[82:83], v[88:89], v[82:83]
	v_fma_f64 v[84:85], v[141:142], s[24:25], -v[133:134]
	v_add_f64 v[80:81], v[90:91], v[80:81]
	v_add_f64 v[88:89], v[187:188], v[94:95]
	v_fma_f64 v[94:95], v[105:106], s[22:23], -v[219:220]
	v_fma_f64 v[113:114], v[129:130], s[22:23], v[221:222]
	v_fma_f64 v[86:87], v[105:106], s[24:25], -v[183:184]
	v_fma_f64 v[90:91], v[129:130], s[24:25], v[189:190]
	;; [unrolled: 2-line block ×3, first 2 shown]
	v_fma_f64 v[175:176], v[105:106], s[24:25], v[183:184]
	v_fma_f64 v[185:186], v[129:130], s[24:25], -v[189:190]
	v_add_f64 v[107:108], v[115:116], v[119:120]
	v_fma_f64 v[115:116], v[105:106], s[0:1], -v[109:110]
	v_add_f64 v[117:118], v[125:126], v[127:128]
	v_add_f64 v[125:126], v[10:11], v[6:7]
	v_add_f64 v[127:128], v[8:9], v[4:5]
	v_fma_f64 v[119:120], v[129:130], s[0:1], v[123:124]
	v_add_f64 v[12:13], v[135:136], v[12:13]
	v_add_f64 v[121:122], v[121:122], v[14:15]
	;; [unrolled: 1-line block ×3, first 2 shown]
	v_fma_f64 v[111:112], v[105:106], s[22:23], v[219:220]
	v_add_f64 v[131:132], v[18:19], v[20:21]
	v_fma_f64 v[133:134], v[129:130], s[22:23], -v[221:222]
	v_add_f64 v[135:136], v[22:23], v[24:25]
	v_fma_f64 v[105:106], v[105:106], s[0:1], v[109:110]
	v_add_f64 v[109:110], v[26:27], v[82:83]
	v_fma_f64 v[123:124], v[129:130], s[0:1], -v[123:124]
	v_add_f64 v[129:130], v[84:85], v[80:81]
	v_add_f64 v[22:23], v[86:87], v[88:89]
	;; [unrolled: 1-line block ×23, first 2 shown]
	v_mov_b32_e32 v96, 4
	v_lshlrev_b32_sdwa v96, v96, v227 dst_sel:DWORD dst_unused:UNUSED_PAD src0_sel:DWORD src1_sel:WORD_0
	ds_write_b128 v96, v[0:3]
	ds_write_b128 v96, v[80:83] offset:16
	ds_write_b128 v96, v[24:27] offset:32
	;; [unrolled: 1-line block ×12, first 2 shown]
.LBB0_13:
	s_or_b32 exec_lo, exec_lo, s33
	s_waitcnt lgkmcnt(0)
	s_barrier
	buffer_gl0_inv
	ds_read_b128 v[0:3], v153 offset:3744
	ds_read_b128 v[4:7], v153 offset:7488
	;; [unrolled: 1-line block ×4, first 2 shown]
	s_mov_b32 s0, 0xe8584caa
	s_mov_b32 s1, 0xbfebb67a
	;; [unrolled: 1-line block ×4, first 2 shown]
	s_waitcnt lgkmcnt(3)
	v_mul_f64 v[16:17], v[34:35], v[2:3]
	s_waitcnt lgkmcnt(2)
	v_mul_f64 v[18:19], v[30:31], v[6:7]
	v_mul_f64 v[20:21], v[34:35], v[0:1]
	v_mul_f64 v[22:23], v[30:31], v[4:5]
	s_waitcnt lgkmcnt(1)
	v_mul_f64 v[24:25], v[42:43], v[10:11]
	s_waitcnt lgkmcnt(0)
	v_mul_f64 v[26:27], v[38:39], v[14:15]
	v_mul_f64 v[30:31], v[42:43], v[8:9]
	;; [unrolled: 1-line block ×3, first 2 shown]
	v_fma_f64 v[16:17], v[32:33], v[0:1], v[16:17]
	v_fma_f64 v[18:19], v[28:29], v[4:5], v[18:19]
	v_fma_f64 v[20:21], v[32:33], v[2:3], -v[20:21]
	v_fma_f64 v[22:23], v[28:29], v[6:7], -v[22:23]
	v_fma_f64 v[8:9], v[40:41], v[8:9], v[24:25]
	v_fma_f64 v[12:13], v[36:37], v[12:13], v[26:27]
	v_fma_f64 v[10:11], v[40:41], v[10:11], -v[30:31]
	v_fma_f64 v[14:15], v[36:37], v[14:15], -v[34:35]
	ds_read_b128 v[0:3], v153
	ds_read_b128 v[4:7], v153 offset:1872
	s_waitcnt lgkmcnt(0)
	s_barrier
	buffer_gl0_inv
	v_add_f64 v[24:25], v[16:17], v[18:19]
	v_add_f64 v[26:27], v[20:21], v[22:23]
	v_add_f64 v[34:35], v[20:21], -v[22:23]
	v_add_f64 v[28:29], v[8:9], v[12:13]
	v_add_f64 v[32:33], v[0:1], v[16:17]
	;; [unrolled: 1-line block ×4, first 2 shown]
	v_add_f64 v[16:17], v[16:17], -v[18:19]
	v_add_f64 v[36:37], v[4:5], v[8:9]
	v_add_f64 v[38:39], v[6:7], v[10:11]
	v_add_f64 v[40:41], v[10:11], -v[14:15]
	v_add_f64 v[42:43], v[8:9], -v[12:13]
	v_fma_f64 v[24:25], v[24:25], -0.5, v[0:1]
	v_fma_f64 v[26:27], v[26:27], -0.5, v[2:3]
	;; [unrolled: 1-line block ×3, first 2 shown]
	v_add_f64 v[0:1], v[32:33], v[18:19]
	v_fma_f64 v[30:31], v[30:31], -0.5, v[6:7]
	v_add_f64 v[2:3], v[20:21], v[22:23]
	v_add_f64 v[4:5], v[36:37], v[12:13]
	;; [unrolled: 1-line block ×3, first 2 shown]
	v_fma_f64 v[8:9], v[34:35], s[0:1], v[24:25]
	v_fma_f64 v[12:13], v[34:35], s[2:3], v[24:25]
	;; [unrolled: 1-line block ×8, first 2 shown]
	ds_write_b128 v155, v[0:3]
	ds_write_b128 v155, v[8:11] offset:208
	ds_write_b128 v155, v[12:15] offset:416
	ds_write_b128 v154, v[4:7]
	ds_write_b128 v154, v[16:19] offset:208
	ds_write_b128 v154, v[20:23] offset:416
	s_waitcnt lgkmcnt(0)
	s_barrier
	buffer_gl0_inv
	ds_read_b128 v[0:3], v153 offset:5616
	ds_read_b128 v[4:7], v153 offset:9360
	;; [unrolled: 1-line block ×5, first 2 shown]
	s_waitcnt lgkmcnt(4)
	v_mul_f64 v[20:21], v[46:47], v[0:1]
	s_waitcnt lgkmcnt(3)
	v_mul_f64 v[22:23], v[62:63], v[4:5]
	;; [unrolled: 2-line block ×3, first 2 shown]
	v_mul_f64 v[26:27], v[46:47], v[2:3]
	v_mul_f64 v[28:29], v[62:63], v[6:7]
	s_waitcnt lgkmcnt(1)
	v_mul_f64 v[30:31], v[58:59], v[12:13]
	s_waitcnt lgkmcnt(0)
	v_mul_f64 v[32:33], v[54:55], v[18:19]
	v_mul_f64 v[34:35], v[54:55], v[16:17]
	v_fma_f64 v[20:21], v[44:45], v[2:3], -v[20:21]
	v_fma_f64 v[6:7], v[60:61], v[6:7], -v[22:23]
	v_mul_f64 v[2:3], v[50:51], v[10:11]
	v_mul_f64 v[22:23], v[58:59], v[14:15]
	v_fma_f64 v[26:27], v[44:45], v[0:1], v[26:27]
	v_fma_f64 v[4:5], v[60:61], v[4:5], v[28:29]
	v_fma_f64 v[10:11], v[48:49], v[10:11], -v[24:25]
	v_fma_f64 v[14:15], v[56:57], v[14:15], -v[30:31]
	v_fma_f64 v[16:17], v[52:53], v[16:17], v[32:33]
	v_fma_f64 v[18:19], v[52:53], v[18:19], -v[34:35]
	v_add_f64 v[0:1], v[20:21], v[6:7]
	v_fma_f64 v[8:9], v[48:49], v[8:9], v[2:3]
	v_fma_f64 v[12:13], v[56:57], v[12:13], v[22:23]
	v_add_f64 v[34:35], v[20:21], -v[6:7]
	v_add_f64 v[22:23], v[26:27], v[4:5]
	v_add_f64 v[24:25], v[26:27], -v[4:5]
	v_add_f64 v[32:33], v[14:15], v[18:19]
	v_add_f64 v[38:39], v[14:15], -v[18:19]
	v_fma_f64 v[28:29], v[0:1], -0.5, v[10:11]
	ds_read_b128 v[0:3], v153
	v_add_f64 v[30:31], v[12:13], v[16:17]
	v_add_f64 v[10:11], v[10:11], v[20:21]
	v_fma_f64 v[22:23], v[22:23], -0.5, v[8:9]
	v_add_f64 v[8:9], v[8:9], v[26:27]
	s_waitcnt lgkmcnt(0)
	s_barrier
	buffer_gl0_inv
	v_add_f64 v[14:15], v[2:3], v[14:15]
	v_fma_f64 v[36:37], v[24:25], s[2:3], v[28:29]
	v_fma_f64 v[24:25], v[24:25], s[0:1], v[28:29]
	v_add_f64 v[28:29], v[0:1], v[12:13]
	v_add_f64 v[12:13], v[12:13], -v[16:17]
	v_fma_f64 v[0:1], v[30:31], -0.5, v[0:1]
	v_fma_f64 v[2:3], v[32:33], -0.5, v[2:3]
	v_fma_f64 v[20:21], v[34:35], s[0:1], v[22:23]
	v_fma_f64 v[22:23], v[34:35], s[2:3], v[22:23]
	v_add_f64 v[4:5], v[8:9], v[4:5]
	v_add_f64 v[6:7], v[10:11], v[6:7]
	;; [unrolled: 1-line block ×3, first 2 shown]
	v_mul_f64 v[26:27], v[36:37], s[0:1]
	v_mul_f64 v[32:33], v[36:37], 0.5
	v_mul_f64 v[30:31], v[24:25], s[0:1]
	v_mul_f64 v[24:25], v[24:25], -0.5
	v_add_f64 v[16:17], v[28:29], v[16:17]
	v_fma_f64 v[18:19], v[38:39], s[0:1], v[0:1]
	v_fma_f64 v[34:35], v[12:13], s[2:3], v[2:3]
	;; [unrolled: 1-line block ×4, first 2 shown]
	v_add_f64 v[2:3], v[14:15], v[6:7]
	v_fma_f64 v[26:27], v[20:21], 0.5, v[26:27]
	v_fma_f64 v[32:33], v[20:21], s[2:3], v[32:33]
	v_fma_f64 v[30:31], v[22:23], -0.5, v[30:31]
	v_fma_f64 v[22:23], v[22:23], s[2:3], v[24:25]
	v_add_f64 v[0:1], v[16:17], v[4:5]
	v_add_f64 v[4:5], v[16:17], -v[4:5]
	v_add_f64 v[6:7], v[14:15], -v[6:7]
	v_add_f64 v[8:9], v[18:19], v[26:27]
	v_add_f64 v[10:11], v[34:35], v[32:33]
	v_add_f64 v[12:13], v[28:29], v[30:31]
	v_add_f64 v[14:15], v[36:37], v[22:23]
	v_add_f64 v[16:17], v[18:19], -v[26:27]
	v_add_f64 v[18:19], v[34:35], -v[32:33]
	v_add_f64 v[20:21], v[28:29], -v[30:31]
	v_add_f64 v[22:23], v[36:37], -v[22:23]
	ds_write_b128 v156, v[0:3]
	ds_write_b128 v156, v[4:7] offset:1872
	ds_write_b128 v156, v[8:11] offset:624
	;; [unrolled: 1-line block ×5, first 2 shown]
	s_waitcnt lgkmcnt(0)
	s_barrier
	buffer_gl0_inv
	ds_read_b128 v[0:3], v153 offset:3744
	ds_read_b128 v[4:7], v153 offset:7488
	;; [unrolled: 1-line block ×4, first 2 shown]
	s_waitcnt lgkmcnt(3)
	v_mul_f64 v[16:17], v[66:67], v[2:3]
	s_waitcnt lgkmcnt(2)
	v_mul_f64 v[18:19], v[70:71], v[6:7]
	v_mul_f64 v[20:21], v[66:67], v[0:1]
	;; [unrolled: 1-line block ×3, first 2 shown]
	s_waitcnt lgkmcnt(1)
	v_mul_f64 v[24:25], v[74:75], v[10:11]
	s_waitcnt lgkmcnt(0)
	v_mul_f64 v[26:27], v[78:79], v[14:15]
	v_mul_f64 v[28:29], v[74:75], v[8:9]
	;; [unrolled: 1-line block ×3, first 2 shown]
	v_fma_f64 v[16:17], v[64:65], v[0:1], v[16:17]
	v_fma_f64 v[18:19], v[68:69], v[4:5], v[18:19]
	v_fma_f64 v[20:21], v[64:65], v[2:3], -v[20:21]
	v_fma_f64 v[22:23], v[68:69], v[6:7], -v[22:23]
	v_fma_f64 v[8:9], v[72:73], v[8:9], v[24:25]
	v_fma_f64 v[12:13], v[76:77], v[12:13], v[26:27]
	v_fma_f64 v[10:11], v[72:73], v[10:11], -v[28:29]
	v_fma_f64 v[14:15], v[76:77], v[14:15], -v[30:31]
	ds_read_b128 v[0:3], v153
	ds_read_b128 v[4:7], v153 offset:1872
	v_add_f64 v[24:25], v[16:17], v[18:19]
	v_add_f64 v[26:27], v[20:21], v[22:23]
	v_add_f64 v[34:35], v[20:21], -v[22:23]
	v_add_f64 v[28:29], v[8:9], v[12:13]
	s_waitcnt lgkmcnt(1)
	v_add_f64 v[32:33], v[0:1], v[16:17]
	v_add_f64 v[30:31], v[10:11], v[14:15]
	;; [unrolled: 1-line block ×3, first 2 shown]
	s_waitcnt lgkmcnt(0)
	v_add_f64 v[36:37], v[4:5], v[8:9]
	v_add_f64 v[38:39], v[6:7], v[10:11]
	v_add_f64 v[16:17], v[16:17], -v[18:19]
	v_add_f64 v[40:41], v[10:11], -v[14:15]
	;; [unrolled: 1-line block ×3, first 2 shown]
	v_fma_f64 v[24:25], v[24:25], -0.5, v[0:1]
	v_fma_f64 v[26:27], v[26:27], -0.5, v[2:3]
	;; [unrolled: 1-line block ×3, first 2 shown]
	v_add_f64 v[0:1], v[32:33], v[18:19]
	v_fma_f64 v[30:31], v[30:31], -0.5, v[6:7]
	v_add_f64 v[2:3], v[20:21], v[22:23]
	v_add_f64 v[4:5], v[36:37], v[12:13]
	;; [unrolled: 1-line block ×3, first 2 shown]
	v_fma_f64 v[8:9], v[34:35], s[0:1], v[24:25]
	v_fma_f64 v[12:13], v[34:35], s[2:3], v[24:25]
	;; [unrolled: 1-line block ×8, first 2 shown]
	ds_write_b128 v153, v[0:3]
	ds_write_b128 v153, v[4:7] offset:1872
	ds_write_b128 v153, v[8:11] offset:3744
	;; [unrolled: 1-line block ×5, first 2 shown]
	s_waitcnt lgkmcnt(0)
	s_barrier
	buffer_gl0_inv
	s_and_b32 exec_lo, exec_lo, vcc_lo
	s_cbranch_execz .LBB0_15
; %bb.14:
	v_add_co_u32 v0, s0, s14, v225
	v_add_co_ci_u32_e64 v1, null, s15, 0, s0
	v_mad_u64_u32 v[50:51], null, s6, v104, 0
	v_add_co_u32 v18, vcc_lo, 0x800, v0
	v_add_co_ci_u32_e32 v19, vcc_lo, 0, v1, vcc_lo
	v_add_co_u32 v30, vcc_lo, 0x1000, v0
	v_add_co_ci_u32_e32 v31, vcc_lo, 0, v1, vcc_lo
	;; [unrolled: 2-line block ×3, first 2 shown]
	v_add_co_u32 v46, vcc_lo, 0x2000, v0
	s_clause 0x7
	global_load_dwordx4 v[2:5], v225, s[14:15]
	global_load_dwordx4 v[6:9], v225, s[14:15] offset:864
	global_load_dwordx4 v[10:13], v225, s[14:15] offset:1728
	global_load_dwordx4 v[14:17], v[18:19], off offset:544
	global_load_dwordx4 v[18:21], v[18:19], off offset:1408
	;; [unrolled: 1-line block ×5, first 2 shown]
	v_add_co_ci_u32_e32 v47, vcc_lo, 0, v1, vcc_lo
	s_clause 0x3
	global_load_dwordx4 v[34:37], v[38:39], off offset:768
	global_load_dwordx4 v[38:41], v[38:39], off offset:1632
	;; [unrolled: 1-line block ×4, first 2 shown]
	v_mad_u64_u32 v[52:53], null, s4, v226, 0
	s_mul_i32 s0, s5, 0x360
	s_mul_hi_u32 s1, s4, 0x360
	s_mul_i32 s2, s4, 0x360
	s_add_i32 s3, s1, s0
	s_mov_b32 s0, 0xc201756d
	s_mov_b32 s1, 0x3f5756ca
	v_mad_u64_u32 v[54:55], null, s7, v104, v[51:52]
	v_mad_u64_u32 v[55:56], null, s5, v226, v[53:54]
	v_mov_b32_e32 v51, v54
	v_lshlrev_b64 v[50:51], 4, v[50:51]
	v_mov_b32_e32 v53, v55
	v_lshlrev_b64 v[52:53], 4, v[52:53]
	v_add_co_u32 v50, vcc_lo, s12, v50
	v_add_co_ci_u32_e32 v51, vcc_lo, s13, v51, vcc_lo
	v_add_co_u32 v102, vcc_lo, v50, v52
	v_add_co_ci_u32_e32 v103, vcc_lo, v51, v53, vcc_lo
	ds_read_b128 v[50:53], v153
	ds_read_b128 v[54:57], v225 offset:864
	ds_read_b128 v[58:61], v225 offset:1728
	;; [unrolled: 1-line block ×12, first 2 shown]
	v_add_co_u32 v104, vcc_lo, v102, s2
	v_add_co_ci_u32_e32 v105, vcc_lo, s3, v103, vcc_lo
	v_add_co_u32 v106, vcc_lo, v104, s2
	v_add_co_ci_u32_e32 v107, vcc_lo, s3, v105, vcc_lo
	;; [unrolled: 2-line block ×9, first 2 shown]
	s_waitcnt vmcnt(11) lgkmcnt(12)
	v_mul_f64 v[122:123], v[52:53], v[4:5]
	v_mul_f64 v[4:5], v[50:51], v[4:5]
	s_waitcnt vmcnt(10) lgkmcnt(11)
	v_mul_f64 v[124:125], v[56:57], v[8:9]
	v_mul_f64 v[8:9], v[54:55], v[8:9]
	;; [unrolled: 3-line block ×12, first 2 shown]
	v_fma_f64 v[50:51], v[50:51], v[2:3], v[122:123]
	v_fma_f64 v[4:5], v[2:3], v[52:53], -v[4:5]
	v_fma_f64 v[52:53], v[54:55], v[6:7], v[124:125]
	v_fma_f64 v[8:9], v[6:7], v[56:57], -v[8:9]
	;; [unrolled: 2-line block ×12, first 2 shown]
	v_mul_f64 v[2:3], v[50:51], s[0:1]
	v_mul_f64 v[4:5], v[4:5], s[0:1]
	;; [unrolled: 1-line block ×24, first 2 shown]
	v_add_co_u32 v50, vcc_lo, v120, s2
	v_add_co_ci_u32_e32 v51, vcc_lo, s3, v121, vcc_lo
	v_add_co_u32 v0, vcc_lo, 0x2800, v0
	v_add_co_ci_u32_e32 v1, vcc_lo, 0, v1, vcc_lo
	;; [unrolled: 2-line block ×3, first 2 shown]
	global_store_dwordx4 v[102:103], v[2:5], off
	global_store_dwordx4 v[104:105], v[6:9], off
	;; [unrolled: 1-line block ×12, first 2 shown]
	global_load_dwordx4 v[0:3], v[0:1], off offset:128
	s_waitcnt vmcnt(0) lgkmcnt(0)
	v_mul_f64 v[4:5], v[100:101], v[2:3]
	v_mul_f64 v[2:3], v[98:99], v[2:3]
	v_fma_f64 v[4:5], v[98:99], v[0:1], v[4:5]
	v_fma_f64 v[2:3], v[0:1], v[100:101], -v[2:3]
	v_mul_f64 v[0:1], v[4:5], s[0:1]
	v_mul_f64 v[2:3], v[2:3], s[0:1]
	v_add_co_u32 v4, vcc_lo, v52, s2
	v_add_co_ci_u32_e32 v5, vcc_lo, s3, v53, vcc_lo
	global_store_dwordx4 v[4:5], v[0:3], off
.LBB0_15:
	s_endpgm
	.section	.rodata,"a",@progbits
	.p2align	6, 0x0
	.amdhsa_kernel bluestein_single_fwd_len702_dim1_dp_op_CI_CI
		.amdhsa_group_segment_fixed_size 11232
		.amdhsa_private_segment_fixed_size 52
		.amdhsa_kernarg_size 104
		.amdhsa_user_sgpr_count 6
		.amdhsa_user_sgpr_private_segment_buffer 1
		.amdhsa_user_sgpr_dispatch_ptr 0
		.amdhsa_user_sgpr_queue_ptr 0
		.amdhsa_user_sgpr_kernarg_segment_ptr 1
		.amdhsa_user_sgpr_dispatch_id 0
		.amdhsa_user_sgpr_flat_scratch_init 0
		.amdhsa_user_sgpr_private_segment_size 0
		.amdhsa_wavefront_size32 1
		.amdhsa_uses_dynamic_stack 0
		.amdhsa_system_sgpr_private_segment_wavefront_offset 1
		.amdhsa_system_sgpr_workgroup_id_x 1
		.amdhsa_system_sgpr_workgroup_id_y 0
		.amdhsa_system_sgpr_workgroup_id_z 0
		.amdhsa_system_sgpr_workgroup_info 0
		.amdhsa_system_vgpr_workitem_id 0
		.amdhsa_next_free_vgpr 255
		.amdhsa_next_free_sgpr 48
		.amdhsa_reserve_vcc 1
		.amdhsa_reserve_flat_scratch 0
		.amdhsa_float_round_mode_32 0
		.amdhsa_float_round_mode_16_64 0
		.amdhsa_float_denorm_mode_32 3
		.amdhsa_float_denorm_mode_16_64 3
		.amdhsa_dx10_clamp 1
		.amdhsa_ieee_mode 1
		.amdhsa_fp16_overflow 0
		.amdhsa_workgroup_processor_mode 1
		.amdhsa_memory_ordered 1
		.amdhsa_forward_progress 0
		.amdhsa_shared_vgpr_count 0
		.amdhsa_exception_fp_ieee_invalid_op 0
		.amdhsa_exception_fp_denorm_src 0
		.amdhsa_exception_fp_ieee_div_zero 0
		.amdhsa_exception_fp_ieee_overflow 0
		.amdhsa_exception_fp_ieee_underflow 0
		.amdhsa_exception_fp_ieee_inexact 0
		.amdhsa_exception_int_div_zero 0
	.end_amdhsa_kernel
	.text
.Lfunc_end0:
	.size	bluestein_single_fwd_len702_dim1_dp_op_CI_CI, .Lfunc_end0-bluestein_single_fwd_len702_dim1_dp_op_CI_CI
                                        ; -- End function
	.section	.AMDGPU.csdata,"",@progbits
; Kernel info:
; codeLenInByte = 16028
; NumSgprs: 50
; NumVgprs: 255
; ScratchSize: 52
; MemoryBound: 0
; FloatMode: 240
; IeeeMode: 1
; LDSByteSize: 11232 bytes/workgroup (compile time only)
; SGPRBlocks: 6
; VGPRBlocks: 31
; NumSGPRsForWavesPerEU: 50
; NumVGPRsForWavesPerEU: 255
; Occupancy: 4
; WaveLimiterHint : 1
; COMPUTE_PGM_RSRC2:SCRATCH_EN: 1
; COMPUTE_PGM_RSRC2:USER_SGPR: 6
; COMPUTE_PGM_RSRC2:TRAP_HANDLER: 0
; COMPUTE_PGM_RSRC2:TGID_X_EN: 1
; COMPUTE_PGM_RSRC2:TGID_Y_EN: 0
; COMPUTE_PGM_RSRC2:TGID_Z_EN: 0
; COMPUTE_PGM_RSRC2:TIDIG_COMP_CNT: 0
	.text
	.p2alignl 6, 3214868480
	.fill 48, 4, 3214868480
	.type	__hip_cuid_337821253b5839fc,@object ; @__hip_cuid_337821253b5839fc
	.section	.bss,"aw",@nobits
	.globl	__hip_cuid_337821253b5839fc
__hip_cuid_337821253b5839fc:
	.byte	0                               ; 0x0
	.size	__hip_cuid_337821253b5839fc, 1

	.ident	"AMD clang version 19.0.0git (https://github.com/RadeonOpenCompute/llvm-project roc-6.4.0 25133 c7fe45cf4b819c5991fe208aaa96edf142730f1d)"
	.section	".note.GNU-stack","",@progbits
	.addrsig
	.addrsig_sym __hip_cuid_337821253b5839fc
	.amdgpu_metadata
---
amdhsa.kernels:
  - .args:
      - .actual_access:  read_only
        .address_space:  global
        .offset:         0
        .size:           8
        .value_kind:     global_buffer
      - .actual_access:  read_only
        .address_space:  global
        .offset:         8
        .size:           8
        .value_kind:     global_buffer
      - .actual_access:  read_only
        .address_space:  global
        .offset:         16
        .size:           8
        .value_kind:     global_buffer
      - .actual_access:  read_only
        .address_space:  global
        .offset:         24
        .size:           8
        .value_kind:     global_buffer
      - .actual_access:  read_only
        .address_space:  global
        .offset:         32
        .size:           8
        .value_kind:     global_buffer
      - .offset:         40
        .size:           8
        .value_kind:     by_value
      - .address_space:  global
        .offset:         48
        .size:           8
        .value_kind:     global_buffer
      - .address_space:  global
        .offset:         56
        .size:           8
        .value_kind:     global_buffer
      - .address_space:  global
        .offset:         64
        .size:           8
        .value_kind:     global_buffer
      - .address_space:  global
        .offset:         72
        .size:           8
        .value_kind:     global_buffer
      - .offset:         80
        .size:           4
        .value_kind:     by_value
      - .address_space:  global
        .offset:         88
        .size:           8
        .value_kind:     global_buffer
      - .address_space:  global
        .offset:         96
        .size:           8
        .value_kind:     global_buffer
    .group_segment_fixed_size: 11232
    .kernarg_segment_align: 8
    .kernarg_segment_size: 104
    .language:       OpenCL C
    .language_version:
      - 2
      - 0
    .max_flat_workgroup_size: 117
    .name:           bluestein_single_fwd_len702_dim1_dp_op_CI_CI
    .private_segment_fixed_size: 52
    .sgpr_count:     50
    .sgpr_spill_count: 0
    .symbol:         bluestein_single_fwd_len702_dim1_dp_op_CI_CI.kd
    .uniform_work_group_size: 1
    .uses_dynamic_stack: false
    .vgpr_count:     255
    .vgpr_spill_count: 12
    .wavefront_size: 32
    .workgroup_processor_mode: 1
amdhsa.target:   amdgcn-amd-amdhsa--gfx1030
amdhsa.version:
  - 1
  - 2
...

	.end_amdgpu_metadata
